;; amdgpu-corpus repo=ROCm/rocFFT kind=compiled arch=gfx1030 opt=O3
	.text
	.amdgcn_target "amdgcn-amd-amdhsa--gfx1030"
	.amdhsa_code_object_version 6
	.protected	fft_rtc_fwd_len289_factors_17_17_wgs_119_tpt_17_sp_op_CI_CI_sbrc_xy_z_diag ; -- Begin function fft_rtc_fwd_len289_factors_17_17_wgs_119_tpt_17_sp_op_CI_CI_sbrc_xy_z_diag
	.globl	fft_rtc_fwd_len289_factors_17_17_wgs_119_tpt_17_sp_op_CI_CI_sbrc_xy_z_diag
	.p2align	8
	.type	fft_rtc_fwd_len289_factors_17_17_wgs_119_tpt_17_sp_op_CI_CI_sbrc_xy_z_diag,@function
fft_rtc_fwd_len289_factors_17_17_wgs_119_tpt_17_sp_op_CI_CI_sbrc_xy_z_diag: ; @fft_rtc_fwd_len289_factors_17_17_wgs_119_tpt_17_sp_op_CI_CI_sbrc_xy_z_diag
; %bb.0:
	s_load_dwordx8 s[8:15], s[4:5], 0x0
	v_add_nc_u32_e32 v2, 0xee, v0
	v_add_nc_u32_e32 v3, 0x165, v0
	;; [unrolled: 1-line block ×6, first 2 shown]
	v_mul_u32_u24_e32 v10, 0xe3, v2
	v_mul_u32_u24_e32 v11, 0xe3, v3
	;; [unrolled: 1-line block ×5, first 2 shown]
	v_lshrrev_b32_e32 v14, 16, v10
	v_lshrrev_b32_e32 v13, 16, v11
	;; [unrolled: 1-line block ×4, first 2 shown]
	v_add_nc_u32_e32 v1, 0x77, v0
	v_mul_lo_u16 v20, 0x121, v14
	v_mul_lo_u16 v19, 0x121, v13
	;; [unrolled: 1-line block ×3, first 2 shown]
	s_waitcnt lgkmcnt(0)
	s_load_dwordx4 s[16:19], s[12:13], 0x8
	s_clause 0x1
	s_load_dwordx4 s[0:3], s[4:5], 0x58
	s_load_dwordx2 s[12:13], s[4:5], 0x20
	s_clause 0x1
	s_load_dwordx4 s[20:23], s[14:15], 0x0
	s_load_dword s25, s[14:15], 0x10
	v_sub_nc_u16 v2, v2, v20
	v_sub_nc_u16 v3, v3, v19
	;; [unrolled: 1-line block ×3, first 2 shown]
	v_add_nc_u32_e32 v8, 0x3b8, v0
	v_mov_b32_e32 v33, 0
	v_and_b32_e32 v27, 0xffff, v2
	v_and_b32_e32 v28, 0xffff, v3
	v_and_b32_e32 v29, 0xffff, v4
	s_mov_b32 s7, 0
	v_add_nc_u32_e32 v37, 0x682, v0
	v_add_nc_u32_e32 v38, 0x6f9, v0
	s_waitcnt lgkmcnt(0)
	s_add_i32 s17, s18, -1
	v_mad_u64_u32 v[2:3], null, s20, v0, 0
	s_mul_hi_u32 s4, s17, 0x24924925
	v_mul_lo_u32 v32, s25, v14
	s_sub_i32 s5, s17, s4
	s_lshr_b32 s5, s5, 1
	s_add_i32 s5, s5, s4
	s_lshr_b32 s4, s5, 2
	v_lshlrev_b64 v[22:23], 3, v[32:33]
	s_add_i32 s5, s4, 1
	v_mul_lo_u32 v32, s25, v13
	s_mul_i32 s5, s5, s16
	s_clause 0x1
	s_load_dwordx4 s[16:19], s[12:13], 0x0
	s_load_dword s4, s[12:13], 0x10
	v_cvt_f32_u32_e32 v9, s5
	s_waitcnt lgkmcnt(0)
	s_sub_i32 s19, 0, s5
	v_rcp_iflag_f32_e32 v15, v9
	v_mul_u32_u24_e32 v9, 0xe3, v5
	v_lshrrev_b32_e32 v11, 16, v9
	v_lshrrev_b32_e32 v9, 16, v17
	v_mul_lo_u16 v17, 0x121, v10
	v_mul_f32_e32 v15, 0x4f7ffffe, v15
	v_mul_lo_u16 v16, 0x121, v11
	v_sub_nc_u16 v6, v6, v17
	v_cvt_u32_f32_e32 v21, v15
	v_mul_lo_u16 v15, 0x121, v9
	v_sub_nc_u16 v5, v5, v16
	v_and_b32_e32 v34, 0xffff, v6
	v_mad_u64_u32 v[16:17], null, s20, v29, 0
	v_readfirstlane_b32 s23, v21
	v_sub_nc_u16 v7, v7, v15
	v_and_b32_e32 v30, 0xffff, v5
	v_mad_u64_u32 v[4:5], null, s20, v1, 0
	s_mul_i32 s19, s19, s23
	v_and_b32_e32 v35, 0xffff, v7
	s_mul_hi_u32 s19, s23, s19
	v_mad_u64_u32 v[6:7], null, s20, v27, 0
	s_add_i32 s23, s23, s19
	v_mad_u64_u32 v[24:25], null, s21, v0, v[3:4]
	s_mul_hi_u32 s19, s6, s23
	v_mad_u64_u32 v[14:15], null, s20, v28, 0
	s_mul_i32 s23, s19, s5
	s_add_i32 s24, s19, 1
	s_sub_i32 s23, s6, s23
	v_mad_u64_u32 v[25:26], null, s21, v1, v[5:6]
	s_sub_i32 s26, s23, s5
	s_cmp_ge_u32 s23, s5
	v_mad_u64_u32 v[18:19], null, s20, v30, 0
	s_cselect_b32 s19, s24, s19
	s_cselect_b32 s23, s26, s23
	s_add_i32 s24, s19, 1
	s_cmp_ge_u32 s23, s5
	v_mad_u64_u32 v[26:27], null, s21, v27, v[7:8]
	s_cselect_b32 s19, s24, s19
	s_lshl_b64 s[10:11], s[10:11], 3
	s_mul_i32 s5, s19, s5
	v_mov_b32_e32 v13, v17
	s_sub_i32 s5, s6, s5
	v_mov_b32_e32 v3, v24
	s_mul_hi_u32 s6, s5, 0xf0f0f0f1
	v_mad_u64_u32 v[27:28], null, s21, v28, v[15:16]
	s_lshr_b32 s6, s6, 4
	v_mov_b32_e32 v5, v25
	s_mul_i32 s23, s6, 17
	v_mad_u64_u32 v[28:29], null, s21, v29, v[13:14]
	s_sub_i32 s23, s5, s23
	v_lshlrev_b64 v[2:3], 3, v[2:3]
	s_add_i32 s6, s6, s23
	s_mul_i32 s23, s23, 7
	s_mul_hi_u32 s5, s6, 0xe2c4a689
	s_mul_i32 s26, s23, s25
	s_lshr_b32 s5, s5, 8
	s_mul_i32 s27, s17, s23
	s_mulk_i32 s5, 0x121
	v_mov_b32_e32 v17, v19
	s_sub_i32 s24, s6, s5
	s_mul_hi_u32 s5, s16, s23
	s_mul_i32 s6, s24, s22
	s_add_i32 s5, s5, s27
	s_add_i32 s6, s6, s26
	s_add_u32 s14, s14, s10
	s_addc_u32 s15, s15, s11
	v_mov_b32_e32 v7, v26
	s_load_dwordx2 s[14:15], s[14:15], 0x0
	v_lshlrev_b64 v[4:5], 3, v[4:5]
	v_mov_b32_e32 v15, v27
	v_mad_u64_u32 v[29:30], null, s21, v30, v[17:18]
	v_lshlrev_b64 v[6:7], 3, v[6:7]
	v_lshlrev_b64 v[30:31], 3, v[32:33]
	v_mul_lo_u32 v32, s25, v12
	v_mov_b32_e32 v17, v28
	v_lshlrev_b64 v[14:15], 3, v[14:15]
	v_mad_u64_u32 v[20:21], null, s20, v34, 0
	v_mov_b32_e32 v19, v29
	v_lshlrev_b64 v[16:17], 3, v[16:17]
	v_mul_u32_u24_e32 v24, 0x717, v8
	v_lshlrev_b64 v[12:13], 3, v[32:33]
	v_mul_lo_u32 v32, s25, v11
	v_lshlrev_b64 v[18:19], 3, v[18:19]
	v_mov_b32_e32 v1, v21
	v_lshrrev_b32_e32 v24, 19, v24
	s_waitcnt lgkmcnt(0)
	s_mul_i32 s15, s15, s19
	s_mul_hi_u32 s22, s14, s19
	s_mul_i32 s14, s14, s19
	s_add_i32 s15, s22, s15
	s_add_u32 s10, s12, s10
	s_addc_u32 s11, s13, s11
	s_lshl_b64 s[12:13], s[14:15], 3
	s_load_dwordx2 s[10:11], s[10:11], 0x0
	s_waitcnt lgkmcnt(0)
	s_mul_i32 s11, s11, s19
	s_mul_hi_u32 s22, s10, s19
	s_mul_i32 s10, s10, s19
	s_add_i32 s11, s22, s11
	s_add_u32 s12, s0, s12
	s_addc_u32 s13, s1, s13
	s_lshl_b64 s[0:1], s[6:7], 3
	s_mul_i32 s6, s24, s4
	s_add_u32 s0, s12, s0
	s_addc_u32 s1, s13, s1
	v_add_co_u32 v2, vcc_lo, s0, v2
	v_add_co_ci_u32_e32 v3, vcc_lo, s1, v3, vcc_lo
	v_add_co_u32 v4, vcc_lo, s0, v4
	v_add_co_ci_u32_e32 v5, vcc_lo, s1, v5, vcc_lo
	;; [unrolled: 2-line block ×8, first 2 shown]
	s_clause 0x3
	global_load_dwordx2 v[2:3], v[2:3], off
	global_load_dwordx2 v[4:5], v[4:5], off
	;; [unrolled: 1-line block ×4, first 2 shown]
	v_lshlrev_b64 v[22:23], 3, v[32:33]
	v_add_co_u32 v18, vcc_lo, s0, v18
	v_add_co_ci_u32_e32 v19, vcc_lo, s1, v19, vcc_lo
	v_mul_lo_u32 v32, s25, v10
	v_add_co_u32 v18, vcc_lo, v18, v22
	v_add_co_ci_u32_e32 v19, vcc_lo, v19, v23, vcc_lo
	v_add_nc_u32_e32 v10, 0x42f, v0
	s_mul_i32 s4, s16, s23
	s_waitcnt vmcnt(3)
	v_mad_u64_u32 v[15:16], null, s21, v34, v[1:2]
	v_mad_u64_u32 v[16:17], null, s20, v35, 0
	v_add_nc_u32_e32 v34, 0x594, v0
	v_mov_b32_e32 v21, v15
	v_mul_lo_u16 v15, 0x121, v24
	v_mov_b32_e32 v1, v17
	v_lshlrev_b64 v[20:21], 3, v[20:21]
	v_mad_u64_u32 v[22:23], null, s21, v35, v[1:2]
	v_sub_nc_u16 v1, v8, v15
	v_add_co_u32 v23, vcc_lo, s0, v20
	v_add_co_ci_u32_e32 v25, vcc_lo, s1, v21, vcc_lo
	v_and_b32_e32 v26, 0xffff, v1
	v_mul_u32_u24_e32 v1, 0x717, v10
	v_mov_b32_e32 v17, v22
	v_lshlrev_b64 v[20:21], 3, v[32:33]
	v_mul_lo_u32 v32, s25, v9
	v_lshrrev_b32_e32 v27, 19, v1
	v_lshlrev_b64 v[8:9], 3, v[16:17]
	v_mad_u64_u32 v[15:16], null, s20, v26, 0
	v_add_co_u32 v20, vcc_lo, v23, v20
	v_mul_lo_u16 v17, 0x121, v27
	v_add_co_ci_u32_e32 v21, vcc_lo, v25, v21, vcc_lo
	v_lshlrev_b64 v[22:23], 3, v[32:33]
	v_add_co_u32 v8, vcc_lo, s0, v8
	v_sub_nc_u16 v10, v10, v17
	v_add_nc_u32_e32 v25, 0x4a6, v0
	v_add_co_ci_u32_e32 v9, vcc_lo, s1, v9, vcc_lo
	v_add_co_u32 v8, vcc_lo, v8, v22
	v_and_b32_e32 v28, 0xffff, v10
	v_mul_u32_u24_e32 v10, 0x717, v25
	v_mov_b32_e32 v1, v16
	v_add_co_ci_u32_e32 v9, vcc_lo, v9, v23, vcc_lo
	v_mad_u64_u32 v[22:23], null, s20, v28, 0
	v_lshrrev_b32_e32 v31, 19, v10
	v_mad_u64_u32 v[16:17], null, s21, v26, v[1:2]
	s_clause 0x3
	global_load_dwordx2 v[10:11], v[11:12], off
	global_load_dwordx2 v[17:18], v[18:19], off
	;; [unrolled: 1-line block ×4, first 2 shown]
	v_add_nc_u32_e32 v21, 0x51d, v0
	v_mul_lo_u16 v12, 0x121, v31
	v_mov_b32_e32 v1, v23
	v_mul_lo_u32 v32, s25, v24
	v_lshlrev_b64 v[15:16], 3, v[15:16]
	v_mad_u64_u32 v[23:24], null, s21, v28, v[1:2]
	v_sub_nc_u16 v1, v25, v12
	v_mul_u32_u24_e32 v12, 0x717, v21
	v_add_co_u32 v26, vcc_lo, s0, v15
	v_add_co_ci_u32_e32 v28, vcc_lo, s1, v16, vcc_lo
	v_and_b32_e32 v29, 0xffff, v1
	v_lshrrev_b32_e32 v12, 19, v12
	v_lshlrev_b64 v[15:16], 3, v[32:33]
	v_mul_lo_u32 v32, s25, v27
	v_mad_u64_u32 v[24:25], null, s20, v29, 0
	v_mul_lo_u16 v1, 0x121, v12
	v_add_co_u32 v15, vcc_lo, v26, v15
	v_add_co_ci_u32_e32 v16, vcc_lo, v28, v16, vcc_lo
	v_sub_nc_u16 v28, v21, v1
	v_lshlrev_b64 v[21:22], 3, v[22:23]
	v_mul_u32_u24_e32 v23, 0x717, v34
	v_mov_b32_e32 v1, v25
	v_lshlrev_b64 v[26:27], 3, v[32:33]
	v_and_b32_e32 v35, 0xffff, v28
	v_mul_lo_u32 v32, s25, v31
	v_lshrrev_b32_e32 v36, 19, v23
	v_mad_u64_u32 v[28:29], null, s21, v29, v[1:2]
	v_add_co_u32 v1, vcc_lo, s0, v21
	v_mad_u64_u32 v[29:30], null, s20, v35, 0
	v_add_co_ci_u32_e32 v22, vcc_lo, s1, v22, vcc_lo
	v_mul_lo_u16 v23, 0x121, v36
	v_add_co_u32 v21, vcc_lo, v1, v26
	v_mov_b32_e32 v25, v28
	v_add_co_ci_u32_e32 v22, vcc_lo, v22, v27, vcc_lo
	v_sub_nc_u16 v27, v34, v23
	v_mov_b32_e32 v1, v30
	v_add_nc_u32_e32 v34, 0x60b, v0
	v_lshlrev_b64 v[23:24], 3, v[24:25]
	v_and_b32_e32 v31, 0xffff, v27
	v_mad_u64_u32 v[25:26], null, s21, v35, v[1:2]
	v_mul_u32_u24_e32 v35, 0x717, v34
	v_add_co_u32 v1, vcc_lo, s0, v23
	v_mad_u64_u32 v[26:27], null, s20, v31, 0
	v_add_co_ci_u32_e32 v28, vcc_lo, s1, v24, vcc_lo
	v_lshlrev_b64 v[23:24], 3, v[32:33]
	v_mul_lo_u32 v32, s25, v12
	v_lshrrev_b32_e32 v12, 19, v35
	v_mov_b32_e32 v30, v25
	v_add_co_u32 v23, vcc_lo, v1, v23
	v_mov_b32_e32 v1, v27
	v_mul_lo_u16 v25, 0x121, v12
	v_add_co_ci_u32_e32 v24, vcc_lo, v28, v24, vcc_lo
	v_lshlrev_b64 v[27:28], 3, v[29:30]
	v_lshlrev_b64 v[29:30], 3, v[32:33]
	v_mad_u64_u32 v[31:32], null, s21, v31, v[1:2]
	v_sub_nc_u16 v1, v34, v25
	v_mul_lo_u32 v32, s25, v36
	v_add_co_u32 v25, vcc_lo, s0, v27
	v_add_co_ci_u32_e32 v27, vcc_lo, s1, v28, vcc_lo
	v_and_b32_e32 v34, 0xffff, v1
	v_add_co_u32 v28, vcc_lo, v25, v29
	v_mul_u32_u24_e32 v1, 0x717, v37
	v_add_co_ci_u32_e32 v29, vcc_lo, v27, v30, vcc_lo
	v_mov_b32_e32 v27, v31
	v_mad_u64_u32 v[30:31], null, s20, v34, 0
	v_lshrrev_b32_e32 v41, 19, v1
	v_add_nc_u32_e32 v36, 0x770, v0
	v_lshlrev_b64 v[25:26], 3, v[26:27]
	s_clause 0x3
	global_load_dwordx2 v[15:16], v[15:16], off
	global_load_dwordx2 v[21:22], v[21:22], off
	;; [unrolled: 1-line block ×4, first 2 shown]
	v_mul_lo_u16 v27, 0x121, v41
	v_mov_b32_e32 v1, v31
	v_mul_u32_u24_e32 v31, 0x717, v38
	v_mad_u64_u32 v[34:35], null, s21, v34, v[1:2]
	v_sub_nc_u16 v1, v37, v27
	v_lshrrev_b32_e32 v27, 19, v31
	v_mul_u32_u24_e32 v31, 0x717, v36
	v_add_co_u32 v37, vcc_lo, s0, v25
	v_and_b32_e32 v40, 0xffff, v1
	v_mul_lo_u16 v1, 0x121, v27
	v_lshrrev_b32_e32 v45, 19, v31
	v_add_co_ci_u32_e32 v39, vcc_lo, s1, v26, vcc_lo
	v_lshlrev_b64 v[25:26], 3, v[32:33]
	v_mov_b32_e32 v31, v34
	v_mad_u64_u32 v[34:35], null, s20, v40, 0
	v_sub_nc_u16 v1, v38, v1
	v_mul_lo_u16 v32, 0x121, v45
	v_add_co_u32 v25, vcc_lo, v37, v25
	v_lshlrev_b64 v[30:31], 3, v[30:31]
	v_add_co_ci_u32_e32 v26, vcc_lo, v39, v26, vcc_lo
	v_sub_nc_u16 v36, v36, v32
	v_mul_lo_u32 v32, s25, v12
	v_and_b32_e32 v12, 0xffff, v1
	v_mov_b32_e32 v1, v35
	v_add_co_u32 v42, vcc_lo, s0, v30
	v_and_b32_e32 v43, 0xffff, v36
	v_mad_u64_u32 v[36:37], null, s20, v12, 0
	v_mad_u64_u32 v[38:39], null, s21, v40, v[1:2]
	;; [unrolled: 1-line block ×3, first 2 shown]
	v_add_co_ci_u32_e32 v44, vcc_lo, s1, v31, vcc_lo
	v_mov_b32_e32 v1, v37
	v_lshlrev_b64 v[30:31], 3, v[32:33]
	v_mov_b32_e32 v35, v38
	v_mul_lo_u32 v32, s25, v41
	v_mad_u64_u32 v[37:38], null, s21, v12, v[1:2]
	v_mov_b32_e32 v1, v40
	v_add_co_u32 v30, vcc_lo, v42, v30
	v_lshlrev_b64 v[34:35], 3, v[34:35]
	v_add_co_ci_u32_e32 v31, vcc_lo, v44, v31, vcc_lo
	v_mad_u64_u32 v[43:44], null, s21, v43, v[1:2]
	v_lshlrev_b64 v[41:42], 3, v[32:33]
	v_mul_lo_u32 v32, s25, v27
	v_add_co_u32 v1, vcc_lo, s0, v34
	v_add_co_ci_u32_e32 v12, vcc_lo, s1, v35, vcc_lo
	v_mov_b32_e32 v40, v43
	v_lshlrev_b64 v[34:35], 3, v[36:37]
	v_add_co_u32 v36, vcc_lo, v1, v41
	v_add_co_ci_u32_e32 v37, vcc_lo, v12, v42, vcc_lo
	v_lshlrev_b64 v[41:42], 3, v[32:33]
	v_mul_lo_u32 v32, s25, v45
	v_lshlrev_b64 v[38:39], 3, v[39:40]
	v_add_co_u32 v1, vcc_lo, s0, v34
	v_add_co_ci_u32_e32 v12, vcc_lo, s1, v35, vcc_lo
	v_add_co_u32 v27, vcc_lo, s0, v38
	v_lshlrev_b64 v[34:35], 3, v[32:33]
	v_add_co_ci_u32_e32 v40, vcc_lo, s1, v39, vcc_lo
	v_add_co_u32 v38, vcc_lo, v1, v41
	v_add_co_ci_u32_e32 v39, vcc_lo, v12, v42, vcc_lo
	v_add_co_u32 v34, vcc_lo, v27, v34
	v_add_co_ci_u32_e32 v35, vcc_lo, v40, v35, vcc_lo
	s_clause 0x4
	global_load_dwordx2 v[25:26], v[25:26], off
	global_load_dwordx2 v[30:31], v[30:31], off
	;; [unrolled: 1-line block ×5, first 2 shown]
	v_mul_u32_u24_e32 v1, 0xf10, v0
	s_lshl_b64 s[0:1], s[10:11], 3
	s_add_u32 s2, s2, s0
	s_addc_u32 s3, s3, s1
	v_lshrrev_b32_e32 v1, 16, v1
	s_lshl_b64 s[0:1], s[4:5], 3
	s_add_u32 s2, s2, s0
	s_addc_u32 s3, s3, s1
	v_add_nc_u32_e32 v12, s23, v1
	v_mul_lo_u16 v1, v1, 17
	s_lshl_b64 s[0:1], s[6:7], 3
	s_add_u32 s0, s2, s0
	v_and_b32_e32 v27, 0xff, v12
	v_sub_nc_u16 v1, v0, v1
	s_mul_i32 s2, s18, 17
	s_addc_u32 s1, s3, s1
	v_mul_lo_u16 v27, v27, 37
	v_and_b32_e32 v38, 0xffff, v1
	v_lshrrev_b16 v27, 8, v27
	v_sub_nc_u16 v32, v12, v27
	v_lshrrev_b16 v32, 1, v32
	v_and_b32_e32 v32, 0x7f, v32
	v_add_nc_u16 v27, v32, v27
	v_mov_b32_e32 v32, 0x121
	v_lshrrev_b16 v27, 2, v27
	v_mul_lo_u16 v27, v27, 7
	v_sub_nc_u16 v12, v12, v27
	v_lshl_add_u32 v27, v0, 3, 0
	v_mul_u32_u24_sdwa v12, v12, v32 dst_sel:DWORD dst_unused:UNUSED_PAD src0_sel:BYTE_0 src1_sel:DWORD
	v_lshlrev_b32_e32 v32, 3, v38
	v_add_nc_u32_e32 v1, 0x400, v27
	v_add_nc_u32_e32 v44, 0xc00, v27
	;; [unrolled: 1-line block ×3, first 2 shown]
	v_lshlrev_b32_e32 v12, 3, v12
	v_add_nc_u32_e32 v46, 0x1c00, v27
	v_add_nc_u32_e32 v47, 0x2c00, v27
	;; [unrolled: 1-line block ×4, first 2 shown]
	v_add3_u32 v36, 0, v32, v12
	v_add_nc_u32_e32 v12, 0x2400, v27
	s_waitcnt vmcnt(15)
	ds_write2_b64 v27, v[2:3], v[4:5] offset1:119
	s_waitcnt vmcnt(13)
	ds_write2_b64 v1, v[6:7], v[13:14] offset0:110 offset1:229
	s_waitcnt vmcnt(11)
	ds_write2_b64 v44, v[10:11], v[17:18] offset0:92 offset1:211
	;; [unrolled: 2-line block ×7, first 2 shown]
	s_waitcnt vmcnt(0)
	ds_write_b64 v27, v[34:35] offset:15232
	v_add_nc_u32_e32 v37, v39, v32
	v_add_nc_u32_e32 v32, 0x400, v36
	s_waitcnt lgkmcnt(0)
	s_barrier
	buffer_gl0_inv
	ds_read_b64 v[34:35], v37
	ds_read2_b64 v[17:20], v36 offset0:17 offset1:34
	ds_read2_b64 v[1:4], v32 offset0:127 offset1:144
	;; [unrolled: 1-line block ×8, first 2 shown]
	v_mad_u32_u24 v39, 0x88, v38, v39
	s_waitcnt lgkmcnt(0)
	s_barrier
	buffer_gl0_inv
	v_add_f32_e32 v42, v34, v17
	v_add_f32_e32 v43, v35, v18
	;; [unrolled: 1-line block ×3, first 2 shown]
	v_sub_f32_e32 v47, v10, v8
	v_sub_f32_e32 v46, v9, v7
	v_add_f32_e32 v42, v42, v19
	v_add_f32_e32 v43, v43, v20
	;; [unrolled: 1-line block ×4, first 2 shown]
	v_sub_f32_e32 v66, v29, v23
	v_sub_f32_e32 v67, v30, v24
	v_add_f32_e32 v29, v42, v29
	v_add_f32_e32 v30, v43, v30
	;; [unrolled: 1-line block ×4, first 2 shown]
	v_sub_f32_e32 v58, v13, v27
	v_add_f32_e32 v29, v29, v31
	v_add_f32_e32 v30, v30, v32
	v_sub_f32_e32 v59, v14, v28
	v_add_f32_e32 v44, v7, v9
	v_add_f32_e32 v45, v8, v10
	;; [unrolled: 1-line block ×4, first 2 shown]
	v_sub_f32_e32 v50, v12, v6
	v_add_f32_e32 v48, v5, v11
	v_sub_f32_e32 v51, v11, v5
	v_add_f32_e32 v13, v13, v15
	v_add_f32_e32 v14, v14, v16
	v_add_f32_e32 v49, v6, v12
	v_sub_f32_e32 v18, v18, v4
	v_add_f32_e32 v41, v3, v17
	v_add_f32_e32 v9, v13, v9
	;; [unrolled: 1-line block ×3, first 2 shown]
	v_sub_f32_e32 v17, v17, v3
	v_mul_f32_e32 v42, 0xbeb8f4ab, v18
	v_mul_f32_e32 v43, 0xbf2c7751, v18
	v_add_f32_e32 v9, v9, v11
	v_add_f32_e32 v10, v10, v12
	v_mul_f32_e32 v70, 0xbf763a35, v18
	v_add_f32_e32 v52, v25, v15
	v_add_f32_e32 v53, v26, v16
	;; [unrolled: 1-line block ×4, first 2 shown]
	v_sub_f32_e32 v54, v15, v25
	v_sub_f32_e32 v55, v16, v26
	v_add_f32_e32 v61, v21, v31
	v_add_f32_e32 v5, v5, v7
	v_add_f32_e32 v6, v6, v8
	v_add_f32_e32 v60, v22, v32
	v_sub_f32_e32 v62, v31, v21
	v_sub_f32_e32 v63, v32, v22
	v_add_f32_e32 v5, v5, v25
	v_add_f32_e32 v6, v6, v26
	;; [unrolled: 1-line block ×4, first 2 shown]
	v_sub_f32_e32 v19, v19, v1
	v_add_f32_e32 v5, v5, v27
	v_add_f32_e32 v6, v6, v28
	v_sub_f32_e32 v20, v20, v2
	v_mul_f32_e32 v31, 0xbf65296c, v18
	v_mul_f32_e32 v32, 0xbf7ee86f, v18
	v_add_f32_e32 v5, v5, v21
	v_add_f32_e32 v6, v6, v22
	v_mul_f32_e32 v29, 0xbf4c4adb, v18
	v_mul_f32_e32 v30, 0xbf06c442, v18
	;; [unrolled: 1-line block ×3, first 2 shown]
	v_add_f32_e32 v5, v5, v23
	v_add_f32_e32 v6, v6, v24
	v_mul_f32_e32 v15, 0xbeb8f4ab, v17
	v_mul_f32_e32 v16, 0xbf2c7751, v17
	v_mul_f32_e32 v71, 0xbf65296c, v17
	v_mul_f32_e32 v13, 0xbf7ee86f, v17
	v_mul_f32_e32 v14, 0xbf763a35, v17
	v_mul_f32_e32 v72, 0xbf4c4adb, v17
	v_mul_f32_e32 v11, 0xbf06c442, v17
	v_mul_f32_e32 v12, 0xbe3c28d5, v17
	v_fma_f32 v17, 0x3f6eb680, v41, -v42
	v_fmac_f32_e32 v42, 0x3f6eb680, v41
	v_fma_f32 v9, 0x3f3d2fb0, v41, -v43
	v_fmac_f32_e32 v43, 0x3f3d2fb0, v41
	;; [unrolled: 2-line block ×3, first 2 shown]
	v_add_f32_e32 v1, v5, v1
	v_add_f32_e32 v2, v6, v2
	v_fma_f32 v7, 0x3ee437d1, v41, -v31
	v_fmac_f32_e32 v31, 0x3ee437d1, v41
	v_fma_f32 v8, 0x3dbcf732, v41, -v32
	v_fmac_f32_e32 v32, 0x3dbcf732, v41
	;; [unrolled: 2-line block ×5, first 2 shown]
	v_fmamk_f32 v22, v40, 0x3f6eb680, v15
	v_fma_f32 v15, 0x3f6eb680, v40, -v15
	v_fmamk_f32 v23, v40, 0x3f3d2fb0, v16
	v_fma_f32 v5, 0x3f3d2fb0, v40, -v16
	;; [unrolled: 2-line block ×3, first 2 shown]
	v_add_f32_e32 v1, v1, v3
	v_add_f32_e32 v2, v2, v4
	v_fmamk_f32 v3, v40, 0x3dbcf732, v13
	v_fma_f32 v4, 0x3dbcf732, v40, -v13
	v_fmamk_f32 v13, v40, 0xbe8c1d8e, v14
	v_fma_f32 v14, 0xbe8c1d8e, v40, -v14
	;; [unrolled: 2-line block ×5, first 2 shown]
	v_add_f32_e32 v40, v34, v42
	v_add_f32_e32 v42, v34, v43
	;; [unrolled: 1-line block ×3, first 2 shown]
	v_mul_f32_e32 v70, 0xbf2c7751, v20
	v_mul_f32_e32 v71, 0xbf2c7751, v19
	v_add_f32_e32 v17, v34, v17
	v_add_f32_e32 v22, v35, v22
	;; [unrolled: 1-line block ×27, first 2 shown]
	v_fma_f32 v72, 0x3f3d2fb0, v68, -v70
	v_add_f32_e32 v18, v34, v18
	v_add_f32_e32 v12, v35, v12
	v_fmamk_f32 v34, v69, 0x3f3d2fb0, v71
	v_mul_f32_e32 v35, 0xbf7ee86f, v20
	v_fmac_f32_e32 v70, 0x3f3d2fb0, v68
	v_add_f32_e32 v17, v72, v17
	v_fma_f32 v71, 0x3f3d2fb0, v69, -v71
	v_add_f32_e32 v22, v34, v22
	v_fma_f32 v34, 0x3dbcf732, v68, -v35
	v_mul_f32_e32 v72, 0xbf7ee86f, v19
	v_add_f32_e32 v40, v70, v40
	v_mul_f32_e32 v70, 0xbf4c4adb, v20
	v_add_f32_e32 v15, v71, v15
	v_add_f32_e32 v9, v34, v9
	v_fmamk_f32 v34, v69, 0x3dbcf732, v72
	v_fmac_f32_e32 v35, 0x3dbcf732, v68
	v_fma_f32 v71, 0x3dbcf732, v69, -v72
	v_fma_f32 v72, 0xbf1a4643, v68, -v70
	v_mul_f32_e32 v73, 0xbf4c4adb, v19
	v_add_f32_e32 v23, v34, v23
	v_add_f32_e32 v34, v35, v42
	;; [unrolled: 1-line block ×4, first 2 shown]
	v_fmamk_f32 v35, v69, 0xbf1a4643, v73
	v_mul_f32_e32 v42, 0xbe3c28d5, v20
	v_fmac_f32_e32 v70, 0xbf1a4643, v68
	v_fma_f32 v71, 0xbf1a4643, v69, -v73
	v_mul_f32_e32 v72, 0xbe3c28d5, v19
	v_add_f32_e32 v6, v35, v6
	v_fma_f32 v35, 0xbf7ba420, v68, -v42
	v_add_f32_e32 v31, v70, v31
	v_add_f32_e32 v16, v71, v16
	v_fmamk_f32 v70, v69, 0xbf7ba420, v72
	v_mul_f32_e32 v71, 0x3f06c442, v20
	v_add_f32_e32 v8, v35, v8
	v_fma_f32 v35, 0xbf7ba420, v69, -v72
	v_mul_f32_e32 v72, 0x3f06c442, v19
	v_add_f32_e32 v3, v70, v3
	v_fma_f32 v70, 0xbf59a7d5, v68, -v71
	v_fmac_f32_e32 v42, 0xbf7ba420, v68
	v_add_f32_e32 v4, v35, v4
	v_mul_f32_e32 v35, 0x3f763a35, v20
	v_fmac_f32_e32 v71, 0xbf59a7d5, v68
	v_add_f32_e32 v10, v70, v10
	v_fma_f32 v70, 0xbf59a7d5, v69, -v72
	v_add_f32_e32 v32, v42, v32
	v_fmamk_f32 v42, v69, 0xbf59a7d5, v72
	v_fma_f32 v72, 0xbe8c1d8e, v68, -v35
	v_mul_f32_e32 v73, 0x3f763a35, v19
	v_add_f32_e32 v14, v70, v14
	v_fmac_f32_e32 v35, 0xbe8c1d8e, v68
	v_mul_f32_e32 v70, 0x3f65296c, v20
	v_add_f32_e32 v13, v42, v13
	v_add_f32_e32 v42, v71, v43
	v_fmamk_f32 v43, v69, 0xbe8c1d8e, v73
	v_mul_f32_e32 v71, 0x3f65296c, v19
	v_add_f32_e32 v29, v35, v29
	v_fma_f32 v35, 0x3ee437d1, v68, -v70
	v_mul_f32_e32 v20, 0x3eb8f4ab, v20
	v_add_f32_e32 v24, v43, v24
	v_fmamk_f32 v43, v69, 0x3ee437d1, v71
	v_mul_f32_e32 v19, 0x3eb8f4ab, v19
	v_add_f32_e32 v26, v35, v26
	v_fma_f32 v35, 0x3f6eb680, v68, -v20
	v_add_f32_e32 v25, v72, v25
	v_fma_f32 v72, 0xbe8c1d8e, v69, -v73
	v_fmac_f32_e32 v70, 0x3ee437d1, v68
	v_add_f32_e32 v28, v43, v28
	v_fma_f32 v43, 0x3ee437d1, v69, -v71
	v_fmac_f32_e32 v20, 0x3f6eb680, v68
	v_fmamk_f32 v68, v69, 0x3f6eb680, v19
	v_fma_f32 v19, 0x3f6eb680, v69, -v19
	v_mul_f32_e32 v69, 0xbf65296c, v67
	v_add_f32_e32 v21, v35, v21
	v_mul_f32_e32 v35, 0xbf65296c, v66
	v_add_f32_e32 v11, v43, v11
	v_add_f32_e32 v18, v20, v18
	v_fma_f32 v43, 0x3ee437d1, v64, -v69
	v_add_f32_e32 v12, v19, v12
	v_fmamk_f32 v19, v65, 0x3ee437d1, v35
	v_mul_f32_e32 v20, 0xbf4c4adb, v67
	v_fma_f32 v35, 0x3ee437d1, v65, -v35
	v_add_f32_e32 v17, v43, v17
	v_fmac_f32_e32 v69, 0x3ee437d1, v64
	v_add_f32_e32 v19, v19, v22
	v_fma_f32 v22, 0xbf1a4643, v64, -v20
	v_mul_f32_e32 v43, 0xbf4c4adb, v66
	v_add_f32_e32 v15, v35, v15
	v_mul_f32_e32 v35, 0x3e3c28d5, v67
	v_add_f32_e32 v41, v68, v41
	v_add_f32_e32 v40, v69, v40
	;; [unrolled: 1-line block ×3, first 2 shown]
	v_fmamk_f32 v22, v65, 0xbf1a4643, v43
	v_fmac_f32_e32 v20, 0xbf1a4643, v64
	v_fma_f32 v43, 0xbf1a4643, v65, -v43
	v_fma_f32 v68, 0xbf7ba420, v64, -v35
	v_mul_f32_e32 v69, 0x3e3c28d5, v66
	v_add_f32_e32 v22, v22, v23
	v_add_f32_e32 v20, v20, v34
	;; [unrolled: 1-line block ×4, first 2 shown]
	v_fmamk_f32 v23, v65, 0xbf7ba420, v69
	v_mul_f32_e32 v34, 0x3f763a35, v67
	v_fmac_f32_e32 v35, 0xbf7ba420, v64
	v_fma_f32 v43, 0xbf7ba420, v65, -v69
	v_mul_f32_e32 v68, 0x3f763a35, v66
	v_add_f32_e32 v6, v23, v6
	v_fma_f32 v23, 0xbe8c1d8e, v64, -v34
	v_add_f32_e32 v31, v35, v31
	v_add_f32_e32 v16, v43, v16
	v_fmamk_f32 v35, v65, 0xbe8c1d8e, v68
	v_mul_f32_e32 v43, 0x3f2c7751, v67
	v_add_f32_e32 v8, v23, v8
	v_fmac_f32_e32 v34, 0xbe8c1d8e, v64
	v_fma_f32 v23, 0xbe8c1d8e, v65, -v68
	v_add_f32_e32 v3, v35, v3
	v_fma_f32 v35, 0x3f3d2fb0, v64, -v43
	v_mul_f32_e32 v68, 0x3f2c7751, v66
	v_add_f32_e32 v32, v34, v32
	v_add_f32_e32 v4, v23, v4
	v_mul_f32_e32 v23, 0xbeb8f4ab, v67
	v_add_f32_e32 v10, v35, v10
	v_fmamk_f32 v34, v65, 0x3f3d2fb0, v68
	v_fmac_f32_e32 v43, 0x3f3d2fb0, v64
	v_fma_f32 v35, 0x3f3d2fb0, v65, -v68
	v_mul_f32_e32 v69, 0xbeb8f4ab, v66
	v_fma_f32 v68, 0x3f6eb680, v64, -v23
	v_add_f32_e32 v13, v34, v13
	v_add_f32_e32 v34, v43, v42
	;; [unrolled: 1-line block ×3, first 2 shown]
	v_fmamk_f32 v35, v65, 0x3f6eb680, v69
	v_fmac_f32_e32 v23, 0x3f6eb680, v64
	v_mul_f32_e32 v42, 0xbf7ee86f, v67
	v_mul_f32_e32 v43, 0xbf7ee86f, v66
	;; [unrolled: 1-line block ×3, first 2 shown]
	v_add_f32_e32 v24, v35, v24
	v_add_f32_e32 v23, v23, v29
	v_fma_f32 v29, 0x3dbcf732, v64, -v42
	v_fmamk_f32 v35, v65, 0x3dbcf732, v43
	v_add_f32_e32 v30, v70, v30
	v_fmac_f32_e32 v42, 0x3dbcf732, v64
	v_add_f32_e32 v25, v68, v25
	v_add_f32_e32 v26, v29, v26
	;; [unrolled: 1-line block ×3, first 2 shown]
	v_mul_f32_e32 v29, 0xbf06c442, v66
	v_fma_f32 v35, 0xbf59a7d5, v64, -v67
	v_add_f32_e32 v30, v42, v30
	v_fma_f32 v42, 0x3dbcf732, v65, -v43
	v_fmac_f32_e32 v67, 0xbf59a7d5, v64
	v_fmamk_f32 v43, v65, 0xbf59a7d5, v29
	v_fma_f32 v29, 0xbf59a7d5, v65, -v29
	v_mul_f32_e32 v64, 0xbf7ee86f, v63
	v_add_f32_e32 v21, v35, v21
	v_mul_f32_e32 v35, 0xbf7ee86f, v62
	v_add_f32_e32 v11, v42, v11
	v_add_f32_e32 v41, v43, v41
	v_fma_f32 v42, 0x3dbcf732, v61, -v64
	v_add_f32_e32 v12, v29, v12
	v_fmamk_f32 v29, v60, 0x3dbcf732, v35
	v_mul_f32_e32 v43, 0xbe3c28d5, v63
	v_fma_f32 v35, 0x3dbcf732, v60, -v35
	v_add_f32_e32 v17, v42, v17
	v_fmac_f32_e32 v64, 0x3dbcf732, v61
	v_add_f32_e32 v19, v29, v19
	v_fma_f32 v29, 0xbf7ba420, v61, -v43
	v_mul_f32_e32 v42, 0xbe3c28d5, v62
	v_add_f32_e32 v15, v35, v15
	v_mul_f32_e32 v35, 0x3f763a35, v63
	v_fma_f32 v68, 0x3f6eb680, v65, -v69
	v_add_f32_e32 v40, v64, v40
	v_add_f32_e32 v9, v29, v9
	v_fmamk_f32 v29, v60, 0xbf7ba420, v42
	v_fmac_f32_e32 v43, 0xbf7ba420, v61
	v_fma_f32 v42, 0xbf7ba420, v60, -v42
	v_fma_f32 v64, 0xbe8c1d8e, v61, -v35
	v_mul_f32_e32 v65, 0x3f763a35, v62
	v_add_f32_e32 v22, v29, v22
	v_add_f32_e32 v20, v43, v20
	;; [unrolled: 1-line block ×4, first 2 shown]
	v_fmamk_f32 v29, v60, 0xbe8c1d8e, v65
	v_mul_f32_e32 v42, 0x3eb8f4ab, v63
	v_fmac_f32_e32 v35, 0xbe8c1d8e, v61
	v_fma_f32 v43, 0xbe8c1d8e, v60, -v65
	v_mul_f32_e32 v64, 0x3eb8f4ab, v62
	v_add_f32_e32 v6, v29, v6
	v_fma_f32 v29, 0x3f6eb680, v61, -v42
	v_add_f32_e32 v31, v35, v31
	v_add_f32_e32 v16, v43, v16
	v_fmamk_f32 v35, v60, 0x3f6eb680, v64
	v_mul_f32_e32 v43, 0xbf65296c, v63
	v_add_f32_e32 v8, v29, v8
	v_fmac_f32_e32 v42, 0x3f6eb680, v61
	v_fma_f32 v29, 0x3f6eb680, v60, -v64
	v_add_f32_e32 v3, v35, v3
	v_fma_f32 v35, 0x3ee437d1, v61, -v43
	v_mul_f32_e32 v64, 0xbf65296c, v62
	v_add_f32_e32 v32, v42, v32
	v_add_f32_e32 v4, v29, v4
	v_mul_f32_e32 v29, 0xbf06c442, v63
	v_add_f32_e32 v10, v35, v10
	v_fmamk_f32 v35, v60, 0x3ee437d1, v64
	v_fmac_f32_e32 v43, 0x3ee437d1, v61
	v_fma_f32 v42, 0x3ee437d1, v60, -v64
	v_mul_f32_e32 v65, 0xbf06c442, v62
	v_fma_f32 v64, 0xbf59a7d5, v61, -v29
	v_add_f32_e32 v13, v35, v13
	v_add_f32_e32 v34, v43, v34
	;; [unrolled: 1-line block ×3, first 2 shown]
	v_fmamk_f32 v35, v60, 0xbf59a7d5, v65
	v_fmac_f32_e32 v29, 0xbf59a7d5, v61
	v_mul_f32_e32 v42, 0x3f4c4adb, v63
	v_mul_f32_e32 v43, 0x3f4c4adb, v62
	;; [unrolled: 1-line block ×3, first 2 shown]
	v_add_f32_e32 v24, v35, v24
	v_add_f32_e32 v23, v29, v23
	v_fma_f32 v29, 0xbf1a4643, v61, -v42
	v_fmamk_f32 v35, v60, 0xbf1a4643, v43
	v_fmac_f32_e32 v42, 0xbf1a4643, v61
	v_add_f32_e32 v25, v64, v25
	v_fma_f32 v64, 0xbf59a7d5, v60, -v65
	v_add_f32_e32 v26, v29, v26
	v_add_f32_e32 v28, v35, v28
	v_mul_f32_e32 v29, 0x3f2c7751, v62
	v_fma_f32 v35, 0x3f3d2fb0, v61, -v63
	v_add_f32_e32 v30, v42, v30
	v_fma_f32 v42, 0xbf1a4643, v60, -v43
	v_fmac_f32_e32 v63, 0x3f3d2fb0, v61
	v_fmamk_f32 v43, v60, 0x3f3d2fb0, v29
	v_fma_f32 v29, 0x3f3d2fb0, v60, -v29
	v_mul_f32_e32 v60, 0xbf763a35, v59
	v_add_f32_e32 v21, v35, v21
	v_mul_f32_e32 v35, 0xbf763a35, v58
	v_add_f32_e32 v11, v42, v11
	v_add_f32_e32 v41, v43, v41
	v_fma_f32 v42, 0xbe8c1d8e, v57, -v60
	v_add_f32_e32 v12, v29, v12
	v_fmamk_f32 v29, v56, 0xbe8c1d8e, v35
	v_mul_f32_e32 v43, 0x3f06c442, v59
	v_fma_f32 v35, 0xbe8c1d8e, v56, -v35
	v_add_f32_e32 v17, v42, v17
	v_mul_f32_e32 v42, 0x3f06c442, v58
	v_add_f32_e32 v19, v29, v19
	v_fma_f32 v29, 0xbf59a7d5, v57, -v43
	v_fmac_f32_e32 v60, 0xbe8c1d8e, v57
	v_add_f32_e32 v15, v35, v15
	v_mul_f32_e32 v35, 0x3f2c7751, v59
	v_mul_f32_e32 v61, 0x3f2c7751, v58
	v_add_f32_e32 v9, v29, v9
	v_fmamk_f32 v29, v56, 0xbf59a7d5, v42
	v_fma_f32 v42, 0xbf59a7d5, v56, -v42
	v_add_f32_e32 v40, v60, v40
	v_fmac_f32_e32 v43, 0xbf59a7d5, v57
	v_fma_f32 v60, 0x3f3d2fb0, v57, -v35
	v_add_f32_e32 v22, v29, v22
	v_add_f32_e32 v5, v42, v5
	v_fmamk_f32 v29, v56, 0x3f3d2fb0, v61
	v_mul_f32_e32 v42, 0xbf65296c, v59
	v_add_f32_e32 v20, v43, v20
	v_add_f32_e32 v7, v60, v7
	v_fmac_f32_e32 v35, 0x3f3d2fb0, v57
	v_fma_f32 v43, 0x3f3d2fb0, v56, -v61
	v_mul_f32_e32 v60, 0xbf65296c, v58
	v_add_f32_e32 v6, v29, v6
	v_fma_f32 v29, 0x3ee437d1, v57, -v42
	v_add_f32_e32 v31, v35, v31
	v_add_f32_e32 v16, v43, v16
	v_fmamk_f32 v35, v56, 0x3ee437d1, v60
	v_mul_f32_e32 v43, 0xbe3c28d5, v59
	v_add_f32_e32 v8, v29, v8
	v_fmac_f32_e32 v42, 0x3ee437d1, v57
	v_fma_f32 v29, 0x3ee437d1, v56, -v60
	v_mul_f32_e32 v60, 0xbe3c28d5, v58
	v_add_f32_e32 v3, v35, v3
	v_fma_f32 v35, 0xbf7ba420, v57, -v43
	v_add_f32_e32 v32, v42, v32
	v_add_f32_e32 v4, v29, v4
	v_mul_f32_e32 v29, 0x3f7ee86f, v59
	v_fma_f32 v42, 0xbf7ba420, v56, -v60
	v_add_f32_e32 v10, v35, v10
	v_fmamk_f32 v35, v56, 0xbf7ba420, v60
	v_fmac_f32_e32 v43, 0xbf7ba420, v57
	v_fma_f32 v60, 0x3dbcf732, v57, -v29
	v_mul_f32_e32 v61, 0x3f7ee86f, v58
	v_add_f32_e32 v14, v42, v14
	v_fmac_f32_e32 v29, 0x3dbcf732, v57
	v_mul_f32_e32 v42, 0xbeb8f4ab, v59
	v_add_f32_e32 v13, v35, v13
	v_add_f32_e32 v34, v43, v34
	v_fmamk_f32 v35, v56, 0x3dbcf732, v61
	v_mul_f32_e32 v43, 0xbeb8f4ab, v58
	v_add_f32_e32 v23, v29, v23
	v_fma_f32 v29, 0x3f6eb680, v57, -v42
	v_fmac_f32_e32 v42, 0x3f6eb680, v57
	v_add_f32_e32 v24, v35, v24
	v_fmamk_f32 v35, v56, 0x3f6eb680, v43
	v_mul_f32_e32 v59, 0xbf4c4adb, v59
	v_add_f32_e32 v26, v29, v26
	v_mul_f32_e32 v29, 0xbf4c4adb, v58
	v_add_f32_e32 v30, v42, v30
	v_add_f32_e32 v28, v35, v28
	v_fma_f32 v35, 0xbf1a4643, v57, -v59
	v_fma_f32 v42, 0x3f6eb680, v56, -v43
	v_fmac_f32_e32 v59, 0xbf1a4643, v57
	v_fmamk_f32 v43, v56, 0xbf1a4643, v29
	v_mul_f32_e32 v57, 0xbf4c4adb, v55
	v_fma_f32 v29, 0xbf1a4643, v56, -v29
	v_add_f32_e32 v11, v42, v11
	v_add_f32_e32 v21, v35, v21
	;; [unrolled: 1-line block ×3, first 2 shown]
	v_fma_f32 v41, 0xbf1a4643, v52, -v57
	v_mul_f32_e32 v42, 0xbf4c4adb, v54
	v_add_f32_e32 v25, v60, v25
	v_fma_f32 v60, 0x3dbcf732, v56, -v61
	v_add_f32_e32 v12, v29, v12
	v_mul_f32_e32 v29, 0x3f763a35, v55
	v_add_f32_e32 v17, v41, v17
	v_fmamk_f32 v41, v53, 0xbf1a4643, v42
	v_fma_f32 v42, 0xbf1a4643, v53, -v42
	v_mul_f32_e32 v56, 0x3f763a35, v54
	v_fma_f32 v43, 0xbe8c1d8e, v52, -v29
	v_fmac_f32_e32 v29, 0xbe8c1d8e, v52
	v_add_f32_e32 v19, v41, v19
	v_add_f32_e32 v15, v42, v15
	v_fmamk_f32 v41, v53, 0xbe8c1d8e, v56
	v_mul_f32_e32 v42, 0xbeb8f4ab, v55
	v_add_f32_e32 v9, v43, v9
	v_fma_f32 v43, 0xbe8c1d8e, v53, -v56
	v_mul_f32_e32 v56, 0xbeb8f4ab, v54
	v_add_f32_e32 v22, v41, v22
	v_fma_f32 v41, 0x3f6eb680, v52, -v42
	v_add_f32_e32 v20, v29, v20
	v_add_f32_e32 v5, v43, v5
	v_fmamk_f32 v29, v53, 0x3f6eb680, v56
	v_mul_f32_e32 v43, 0xbf06c442, v55
	v_add_f32_e32 v7, v41, v7
	v_fma_f32 v41, 0x3f6eb680, v53, -v56
	v_fmac_f32_e32 v57, 0xbf1a4643, v52
	v_fmac_f32_e32 v42, 0x3f6eb680, v52
	v_add_f32_e32 v6, v29, v6
	v_fma_f32 v29, 0xbf59a7d5, v52, -v43
	v_mul_f32_e32 v56, 0xbf06c442, v54
	v_add_f32_e32 v16, v41, v16
	v_mul_f32_e32 v41, 0x3f7ee86f, v55
	v_add_f32_e32 v40, v57, v40
	v_add_f32_e32 v31, v42, v31
	;; [unrolled: 1-line block ×3, first 2 shown]
	v_fmamk_f32 v29, v53, 0xbf59a7d5, v56
	v_fmac_f32_e32 v43, 0xbf59a7d5, v52
	v_fma_f32 v42, 0xbf59a7d5, v53, -v56
	v_fma_f32 v56, 0x3dbcf732, v52, -v41
	v_mul_f32_e32 v57, 0x3f7ee86f, v54
	v_add_f32_e32 v27, v72, v27
	v_add_f32_e32 v3, v29, v3
	;; [unrolled: 1-line block ×5, first 2 shown]
	v_fmamk_f32 v32, v53, 0x3dbcf732, v57
	v_mul_f32_e32 v42, 0xbf2c7751, v55
	v_fmac_f32_e32 v41, 0x3dbcf732, v52
	v_fma_f32 v43, 0x3dbcf732, v53, -v57
	v_mul_f32_e32 v56, 0xbf2c7751, v54
	v_add_f32_e32 v27, v68, v27
	v_add_f32_e32 v13, v32, v13
	v_fma_f32 v32, 0x3f3d2fb0, v52, -v42
	v_add_f32_e32 v34, v41, v34
	v_add_f32_e32 v14, v43, v14
	v_fmamk_f32 v41, v53, 0x3f3d2fb0, v56
	v_mul_f32_e32 v43, 0xbe3c28d5, v55
	v_add_f32_e32 v27, v64, v27
	v_add_f32_e32 v25, v32, v25
	v_fmac_f32_e32 v42, 0x3f3d2fb0, v52
	v_fma_f32 v32, 0x3f3d2fb0, v53, -v56
	v_add_f32_e32 v24, v41, v24
	v_fma_f32 v41, 0xbf7ba420, v52, -v43
	v_mul_f32_e32 v56, 0xbe3c28d5, v54
	v_add_f32_e32 v18, v67, v18
	v_add_f32_e32 v27, v60, v27
	;; [unrolled: 1-line block ×4, first 2 shown]
	v_fmamk_f32 v41, v53, 0xbf7ba420, v56
	v_fma_f32 v42, 0xbf7ba420, v53, -v56
	v_mul_f32_e32 v54, 0x3f65296c, v54
	v_add_f32_e32 v18, v63, v18
	v_add_f32_e32 v27, v32, v27
	v_mul_f32_e32 v32, 0x3f65296c, v55
	v_add_f32_e32 v28, v41, v28
	v_add_f32_e32 v11, v42, v11
	v_fmamk_f32 v41, v53, 0x3ee437d1, v54
	v_mul_f32_e32 v42, 0xbf06c442, v47
	v_add_f32_e32 v18, v59, v18
	v_fmac_f32_e32 v43, 0xbf7ba420, v52
	v_fma_f32 v55, 0x3ee437d1, v52, -v32
	v_fmac_f32_e32 v32, 0x3ee437d1, v52
	v_mul_f32_e32 v52, 0xbf06c442, v46
	v_add_f32_e32 v35, v41, v35
	v_fma_f32 v41, 0xbf59a7d5, v44, -v42
	v_add_f32_e32 v30, v43, v30
	v_fma_f32 v43, 0x3ee437d1, v53, -v54
	v_add_f32_e32 v18, v32, v18
	v_fmamk_f32 v32, v45, 0xbf59a7d5, v52
	v_add_f32_e32 v17, v41, v17
	v_fmac_f32_e32 v42, 0xbf59a7d5, v44
	v_fma_f32 v41, 0xbf59a7d5, v45, -v52
	v_mul_f32_e32 v52, 0x3f65296c, v46
	v_add_f32_e32 v12, v43, v12
	v_mul_f32_e32 v43, 0x3f65296c, v47
	v_add_f32_e32 v19, v32, v19
	v_add_f32_e32 v32, v42, v40
	;; [unrolled: 1-line block ×3, first 2 shown]
	v_fmamk_f32 v40, v45, 0x3ee437d1, v52
	v_mul_f32_e32 v41, 0xbf7ee86f, v47
	v_fma_f32 v53, 0x3ee437d1, v44, -v43
	v_fmac_f32_e32 v43, 0x3ee437d1, v44
	v_fma_f32 v42, 0x3ee437d1, v45, -v52
	v_mul_f32_e32 v52, 0xbf7ee86f, v46
	v_add_f32_e32 v22, v40, v22
	v_fma_f32 v40, 0x3dbcf732, v44, -v41
	v_add_f32_e32 v20, v43, v20
	v_add_f32_e32 v42, v42, v5
	v_fmamk_f32 v5, v45, 0x3dbcf732, v52
	v_mul_f32_e32 v43, 0x3f4c4adb, v47
	v_add_f32_e32 v40, v40, v7
	v_fma_f32 v7, 0x3dbcf732, v45, -v52
	v_mul_f32_e32 v52, 0x3f4c4adb, v46
	v_add_f32_e32 v9, v53, v9
	v_fmac_f32_e32 v41, 0x3dbcf732, v44
	v_fma_f32 v53, 0xbf1a4643, v44, -v43
	v_add_f32_e32 v54, v5, v6
	v_fmamk_f32 v5, v45, 0xbf1a4643, v52
	v_mul_f32_e32 v6, 0xbeb8f4ab, v47
	v_add_f32_e32 v31, v41, v31
	v_add_f32_e32 v16, v7, v16
	;; [unrolled: 1-line block ×3, first 2 shown]
	v_fmac_f32_e32 v43, 0xbf1a4643, v44
	v_fma_f32 v7, 0xbf1a4643, v45, -v52
	v_mul_f32_e32 v8, 0xbeb8f4ab, v46
	v_add_f32_e32 v52, v5, v3
	v_fma_f32 v3, 0x3f6eb680, v44, -v6
	v_add_f32_e32 v29, v43, v29
	v_add_f32_e32 v43, v7, v4
	v_fmamk_f32 v4, v45, 0x3f6eb680, v8
	v_mul_f32_e32 v5, 0xbe3c28d5, v47
	v_add_f32_e32 v53, v3, v10
	v_fma_f32 v3, 0x3f6eb680, v45, -v8
	v_mul_f32_e32 v7, 0xbe3c28d5, v46
	v_add_f32_e32 v21, v55, v21
	v_fmac_f32_e32 v6, 0x3f6eb680, v44
	v_fma_f32 v8, 0xbf7ba420, v44, -v5
	v_add_f32_e32 v55, v4, v13
	v_add_f32_e32 v56, v3, v14
	v_fmamk_f32 v3, v45, 0xbf7ba420, v7
	v_mul_f32_e32 v4, 0x3f2c7751, v47
	v_fmac_f32_e32 v5, 0xbf7ba420, v44
	v_add_f32_e32 v34, v6, v34
	v_fma_f32 v6, 0xbf7ba420, v45, -v7
	v_add_f32_e32 v24, v3, v24
	v_mul_f32_e32 v3, 0x3f2c7751, v46
	v_fma_f32 v7, 0x3f3d2fb0, v44, -v4
	v_add_f32_e32 v57, v5, v23
	v_mul_f32_e32 v5, 0xbf763a35, v47
	v_add_f32_e32 v27, v6, v27
	v_fmamk_f32 v6, v45, 0x3f3d2fb0, v3
	v_add_f32_e32 v47, v7, v26
	v_fma_f32 v3, 0x3f3d2fb0, v45, -v3
	v_fma_f32 v7, 0xbe8c1d8e, v44, -v5
	v_add_f32_e32 v25, v8, v25
	v_add_f32_e32 v28, v6, v28
	v_mul_f32_e32 v6, 0xbf763a35, v46
	v_fmac_f32_e32 v4, 0x3f3d2fb0, v44
	v_add_f32_e32 v58, v7, v21
	v_mul_f32_e32 v7, 0xbe3c28d5, v50
	v_add_f32_e32 v46, v3, v11
	v_fmamk_f32 v3, v45, 0xbe8c1d8e, v6
	v_add_f32_e32 v30, v4, v30
	v_fma_f32 v4, 0xbe8c1d8e, v45, -v6
	v_fma_f32 v8, 0xbf7ba420, v48, -v7
	v_mul_f32_e32 v6, 0xbe3c28d5, v51
	v_add_f32_e32 v35, v3, v35
	v_mul_f32_e32 v10, 0x3eb8f4ab, v50
	v_fmac_f32_e32 v5, 0xbe8c1d8e, v44
	v_add_f32_e32 v3, v8, v17
	v_mul_f32_e32 v8, 0x3eb8f4ab, v51
	v_add_f32_e32 v45, v4, v12
	v_fmamk_f32 v4, v49, 0xbf7ba420, v6
	v_fmac_f32_e32 v7, 0xbf7ba420, v48
	v_fma_f32 v11, 0x3f6eb680, v48, -v10
	v_mul_f32_e32 v13, 0xbf06c442, v50
	v_fmamk_f32 v12, v49, 0x3f6eb680, v8
	v_fmac_f32_e32 v10, 0x3f6eb680, v48
	v_mul_f32_e32 v17, 0x3f2c7751, v50
	v_add_f32_e32 v44, v5, v18
	v_fma_f32 v6, 0xbf7ba420, v49, -v6
	v_add_f32_e32 v4, v4, v19
	v_add_f32_e32 v5, v7, v32
	;; [unrolled: 1-line block ×3, first 2 shown]
	v_fma_f32 v11, 0x3f6eb680, v49, -v8
	v_fma_f32 v14, 0xbf59a7d5, v48, -v13
	v_add_f32_e32 v8, v12, v22
	v_mul_f32_e32 v12, 0xbf06c442, v51
	v_add_f32_e32 v9, v10, v20
	v_fma_f32 v19, 0x3f3d2fb0, v48, -v17
	v_fmac_f32_e32 v17, 0x3f3d2fb0, v48
	v_mul_f32_e32 v20, 0xbf4c4adb, v51
	v_mul_f32_e32 v26, 0x3f65296c, v50
	v_add_f32_e32 v6, v6, v15
	v_add_f32_e32 v10, v11, v42
	;; [unrolled: 1-line block ×3, first 2 shown]
	v_fmamk_f32 v14, v49, 0xbf59a7d5, v12
	v_fmac_f32_e32 v13, 0xbf59a7d5, v48
	v_fma_f32 v15, 0xbf59a7d5, v49, -v12
	v_mul_f32_e32 v21, 0xbf4c4adb, v50
	v_add_f32_e32 v17, v17, v29
	v_fmamk_f32 v22, v49, 0xbf1a4643, v20
	v_fma_f32 v23, 0xbf1a4643, v49, -v20
	v_fma_f32 v29, 0x3ee437d1, v48, -v26
	v_add_f32_e32 v12, v14, v54
	v_add_f32_e32 v13, v13, v31
	;; [unrolled: 1-line block ×4, first 2 shown]
	v_fma_f32 v19, 0xbf1a4643, v48, -v21
	v_fmac_f32_e32 v21, 0xbf1a4643, v48
	v_add_f32_e32 v20, v22, v55
	v_mul_f32_e32 v31, 0x3f65296c, v51
	v_add_f32_e32 v22, v23, v56
	v_add_f32_e32 v23, v29, v25
	v_mul_f32_e32 v29, 0xbf763a35, v50
	v_add_f32_e32 v21, v21, v34
	v_fmamk_f32 v25, v49, 0x3ee437d1, v31
	v_fmac_f32_e32 v26, 0x3ee437d1, v48
	v_fma_f32 v31, 0x3ee437d1, v49, -v31
	v_mul_f32_e32 v32, 0xbf763a35, v51
	v_fma_f32 v34, 0xbe8c1d8e, v48, -v29
	v_mul_f32_e32 v18, 0x3f2c7751, v51
	v_add_f32_e32 v24, v25, v24
	v_add_f32_e32 v25, v26, v57
	;; [unrolled: 1-line block ×3, first 2 shown]
	v_fmamk_f32 v31, v49, 0xbe8c1d8e, v32
	v_add_f32_e32 v27, v34, v47
	v_mul_f32_e32 v34, 0x3f7ee86f, v50
	v_mul_f32_e32 v40, 0x3f7ee86f, v51
	v_fmamk_f32 v16, v49, 0x3f3d2fb0, v18
	v_fmac_f32_e32 v29, 0xbe8c1d8e, v48
	v_add_f32_e32 v28, v31, v28
	v_fma_f32 v31, 0xbe8c1d8e, v49, -v32
	v_fma_f32 v32, 0x3dbcf732, v48, -v34
	v_fmamk_f32 v41, v49, 0x3dbcf732, v40
	v_fmac_f32_e32 v34, 0x3dbcf732, v48
	v_fma_f32 v40, 0x3dbcf732, v49, -v40
	v_fma_f32 v18, 0x3f3d2fb0, v49, -v18
	v_add_f32_e32 v16, v16, v52
	v_add_f32_e32 v19, v19, v53
	;; [unrolled: 1-line block ×9, first 2 shown]
	ds_write2_b64 v39, v[1:2], v[3:4] offset1:1
	ds_write2_b64 v39, v[7:8], v[11:12] offset0:2 offset1:3
	ds_write2_b64 v39, v[15:16], v[19:20] offset0:4 offset1:5
	;; [unrolled: 1-line block ×7, first 2 shown]
	v_lshlrev_b32_e32 v9, 7, v38
	ds_write_b64 v39, v[5:6] offset:128
	s_waitcnt lgkmcnt(0)
	s_barrier
	buffer_gl0_inv
	s_clause 0x7
	global_load_dwordx4 v[1:4], v9, s[8:9]
	global_load_dwordx4 v[5:8], v9, s[8:9] offset:16
	global_load_dwordx4 v[11:14], v9, s[8:9] offset:32
	;; [unrolled: 1-line block ×7, first 2 shown]
	ds_read2_b64 v[15:18], v36 offset0:17 offset1:34
	ds_read2_b32 v[9:10], v36 offset0:102 offset1:103
	ds_read2_b64 v[46:49], v36 offset0:68 offset1:85
	ds_read2_b64 v[50:53], v36 offset0:102 offset1:119
	ds_read_b64 v[34:35], v37
	ds_read2_b64 v[54:57], v36 offset0:136 offset1:153
	s_waitcnt vmcnt(7) lgkmcnt(5)
	v_mul_f32_e32 v19, v2, v16
	v_mul_f32_e32 v58, v2, v15
	;; [unrolled: 1-line block ×4, first 2 shown]
	s_waitcnt vmcnt(6) lgkmcnt(3)
	v_mul_f32_e32 v4, v47, v8
	v_fma_f32 v60, v1, v15, -v19
	v_fmac_f32_e32 v58, v1, v16
	v_fma_f32 v61, v3, v17, -v2
	ds_read_b64 v[1:2], v36 offset:2176
	v_fmac_f32_e32 v59, v3, v18
	v_mul_f32_e32 v3, v10, v6
	v_mul_f32_e32 v37, v6, v9
	;; [unrolled: 1-line block ×3, first 2 shown]
	s_waitcnt vmcnt(5)
	v_mul_f32_e32 v15, v48, v12
	v_fma_f32 v20, v46, v7, -v4
	v_fma_f32 v62, v5, v9, -v3
	v_mul_f32_e32 v3, v49, v12
	s_waitcnt lgkmcnt(3)
	v_mul_f32_e32 v4, v51, v14
	v_fmac_f32_e32 v37, v10, v5
	v_fmac_f32_e32 v19, v47, v7
	v_fmac_f32_e32 v15, v49, v11
	v_fma_f32 v16, v48, v11, -v3
	v_fma_f32 v12, v50, v13, -v4
	ds_read2_b64 v[46:49], v36 offset0:170 offset1:187
	s_waitcnt lgkmcnt(3)
	v_add_f32_e32 v4, v60, v34
	v_add_f32_e32 v5, v58, v35
	s_waitcnt vmcnt(4)
	v_mul_f32_e32 v3, v53, v22
	v_mul_f32_e32 v11, v50, v14
	;; [unrolled: 1-line block ×3, first 2 shown]
	v_add_f32_e32 v9, v4, v61
	v_add_f32_e32 v5, v5, v59
	v_fma_f32 v8, v52, v21, -v3
	s_waitcnt lgkmcnt(2)
	v_mul_f32_e32 v6, v55, v24
	v_mul_f32_e32 v3, v54, v24
	v_add_f32_e32 v9, v9, v62
	v_add_f32_e32 v10, v5, v37
	v_fmac_f32_e32 v11, v51, v13
	v_fmac_f32_e32 v7, v53, v21
	v_fma_f32 v4, v54, v23, -v6
	v_fmac_f32_e32 v3, v55, v23
	ds_read2_b64 v[21:24], v36 offset0:204 offset1:221
	v_add_f32_e32 v13, v9, v20
	v_add_f32_e32 v10, v10, v19
	s_waitcnt vmcnt(3) lgkmcnt(1)
	v_mul_f32_e32 v14, v47, v28
	s_waitcnt vmcnt(2)
	v_mul_f32_e32 v18, v49, v30
	v_mul_f32_e32 v6, v57, v26
	v_add_f32_e32 v13, v13, v16
	v_add_f32_e32 v17, v10, v15
	v_fma_f32 v10, v46, v27, -v14
	v_mul_f32_e32 v5, v56, v26
	v_mul_f32_e32 v9, v46, v28
	v_add_f32_e32 v14, v13, v12
	v_add_f32_e32 v17, v17, v11
	v_mul_f32_e32 v13, v48, v30
	v_fma_f32 v6, v56, v25, -v6
	v_fmac_f32_e32 v5, v57, v25
	v_add_f32_e32 v30, v14, v8
	v_fma_f32 v14, v48, v29, -v18
	v_add_f32_e32 v18, v17, v7
	v_fmac_f32_e32 v9, v47, v27
	ds_read2_b64 v[25:28], v36 offset0:238 offset1:255
	s_waitcnt lgkmcnt(1)
	v_mul_f32_e32 v46, v22, v32
	v_fmac_f32_e32 v13, v49, v29
	v_add_f32_e32 v29, v30, v4
	v_add_f32_e32 v30, v18, v3
	v_mul_f32_e32 v17, v21, v32
	v_fma_f32 v18, v21, v31, -v46
	s_waitcnt vmcnt(1)
	v_mul_f32_e32 v32, v24, v39
	v_add_f32_e32 v29, v29, v6
	v_mul_f32_e32 v21, v23, v39
	v_add_f32_e32 v30, v30, v5
	v_fmac_f32_e32 v17, v22, v31
	v_fma_f32 v22, v23, v38, -v32
	v_add_f32_e32 v23, v29, v10
	v_fmac_f32_e32 v21, v24, v38
	v_add_f32_e32 v24, v30, v9
	s_waitcnt vmcnt(0) lgkmcnt(0)
	s_barrier
	v_add_f32_e32 v23, v23, v14
	buffer_gl0_inv
	v_add_f32_e32 v24, v24, v13
	v_mul_f32_e32 v29, v26, v41
	v_mul_f32_e32 v30, v25, v41
	;; [unrolled: 1-line block ×3, first 2 shown]
	v_add_f32_e32 v23, v23, v18
	v_add_f32_e32 v24, v24, v17
	v_fma_f32 v25, v25, v40, -v29
	v_fmac_f32_e32 v30, v26, v40
	v_fma_f32 v26, v27, v42, -v31
	v_mul_f32_e32 v27, v27, v43
	v_mul_f32_e32 v29, v1, v45
	v_add_f32_e32 v23, v23, v22
	v_mul_f32_e32 v31, v2, v45
	v_add_f32_e32 v24, v24, v21
	v_fmac_f32_e32 v27, v28, v42
	v_fmac_f32_e32 v29, v2, v44
	v_add_f32_e32 v2, v23, v25
	v_fma_f32 v1, v1, v44, -v31
	v_add_f32_e32 v23, v24, v30
	v_sub_f32_e32 v68, v61, v26
	v_sub_f32_e32 v24, v58, v29
	v_add_f32_e32 v2, v2, v26
	v_sub_f32_e32 v28, v60, v1
	v_add_f32_e32 v23, v23, v27
	v_add_f32_e32 v31, v60, v1
	v_mul_f32_e32 v32, 0xbeb8f4ab, v24
	v_add_f32_e32 v38, v58, v29
	v_add_f32_e32 v1, v2, v1
	v_mul_f32_e32 v39, 0xbf2c7751, v24
	v_add_f32_e32 v2, v23, v29
	v_mul_f32_e32 v29, 0xbf65296c, v24
	v_mul_f32_e32 v41, 0xbf7ee86f, v24
	;; [unrolled: 1-line block ×13, first 2 shown]
	v_fma_f32 v23, 0x3f6eb680, v31, -v32
	v_fmac_f32_e32 v32, 0x3f6eb680, v31
	v_fma_f32 v40, 0x3f3d2fb0, v31, -v39
	v_fmac_f32_e32 v39, 0x3f3d2fb0, v31
	;; [unrolled: 2-line block ×8, first 2 shown]
	v_fmamk_f32 v31, v38, 0x3f6eb680, v50
	v_fma_f32 v50, 0x3f6eb680, v38, -v50
	v_fmamk_f32 v54, v38, 0x3f3d2fb0, v52
	v_fmamk_f32 v56, v38, 0x3ee437d1, v53
	;; [unrolled: 1-line block ×4, first 2 shown]
	v_mul_f32_e32 v28, 0xbe3c28d5, v28
	v_fmamk_f32 v65, v38, 0xbf1a4643, v60
	v_fmamk_f32 v66, v38, 0xbf59a7d5, v64
	v_fma_f32 v52, 0x3f3d2fb0, v38, -v52
	v_fma_f32 v53, 0x3ee437d1, v38, -v53
	;; [unrolled: 1-line block ×6, first 2 shown]
	v_fmamk_f32 v67, v38, 0xbf7ba420, v28
	v_fma_f32 v28, 0xbf7ba420, v38, -v28
	v_add_f32_e32 v38, v50, v35
	v_add_f32_e32 v50, v54, v35
	;; [unrolled: 1-line block ×7, first 2 shown]
	v_sub_f32_e32 v66, v59, v27
	v_add_f32_e32 v26, v61, v26
	v_add_f32_e32 v27, v59, v27
	v_mul_f32_e32 v59, 0xbf2c7751, v68
	v_add_f32_e32 v23, v23, v34
	v_mul_f32_e32 v61, 0xbf2c7751, v66
	v_add_f32_e32 v31, v31, v35
	v_add_f32_e32 v32, v32, v34
	;; [unrolled: 1-line block ×22, first 2 shown]
	v_fma_f32 v69, 0x3f3d2fb0, v26, -v61
	v_add_f32_e32 v24, v24, v34
	v_add_f32_e32 v28, v28, v35
	v_fmamk_f32 v34, v27, 0x3f3d2fb0, v59
	v_mul_f32_e32 v35, 0xbf7ee86f, v66
	v_fma_f32 v59, 0x3f3d2fb0, v27, -v59
	v_add_f32_e32 v23, v69, v23
	v_fmac_f32_e32 v61, 0x3f3d2fb0, v26
	v_add_f32_e32 v31, v34, v31
	v_fma_f32 v34, 0x3dbcf732, v26, -v35
	v_mul_f32_e32 v69, 0xbf7ee86f, v68
	v_add_f32_e32 v38, v59, v38
	v_mul_f32_e32 v59, 0xbf4c4adb, v66
	v_add_f32_e32 v32, v61, v32
	v_add_f32_e32 v34, v34, v40
	v_fmamk_f32 v40, v27, 0x3dbcf732, v69
	v_fmac_f32_e32 v35, 0x3dbcf732, v26
	v_fma_f32 v61, 0x3dbcf732, v27, -v69
	v_fma_f32 v69, 0xbf1a4643, v26, -v59
	v_mul_f32_e32 v70, 0xbf4c4adb, v68
	v_add_f32_e32 v40, v40, v50
	v_add_f32_e32 v35, v35, v39
	;; [unrolled: 1-line block ×4, first 2 shown]
	v_fmamk_f32 v50, v27, 0xbf1a4643, v70
	v_mul_f32_e32 v52, 0xbe3c28d5, v66
	v_fmac_f32_e32 v59, 0xbf1a4643, v26
	v_fma_f32 v61, 0xbf1a4643, v27, -v70
	v_mul_f32_e32 v69, 0xbe3c28d5, v68
	v_add_f32_e32 v50, v50, v54
	v_fma_f32 v54, 0xbf7ba420, v26, -v52
	v_add_f32_e32 v29, v59, v29
	v_add_f32_e32 v53, v61, v53
	v_fmamk_f32 v59, v27, 0xbf7ba420, v69
	v_mul_f32_e32 v61, 0x3f06c442, v66
	v_add_f32_e32 v44, v54, v44
	v_fmac_f32_e32 v52, 0xbf7ba420, v26
	v_fma_f32 v54, 0xbf7ba420, v27, -v69
	v_add_f32_e32 v56, v59, v56
	v_fma_f32 v59, 0xbf59a7d5, v26, -v61
	v_mul_f32_e32 v69, 0x3f06c442, v68
	v_add_f32_e32 v41, v52, v41
	v_add_f32_e32 v52, v54, v55
	v_mul_f32_e32 v54, 0x3f763a35, v66
	v_add_f32_e32 v46, v59, v46
	v_fmamk_f32 v55, v27, 0xbf59a7d5, v69
	v_fmac_f32_e32 v61, 0xbf59a7d5, v26
	v_fma_f32 v59, 0xbf59a7d5, v27, -v69
	v_mul_f32_e32 v70, 0x3f763a35, v68
	v_fma_f32 v69, 0xbe8c1d8e, v26, -v54
	v_add_f32_e32 v55, v55, v58
	v_add_f32_e32 v43, v61, v43
	;; [unrolled: 1-line block ×3, first 2 shown]
	v_fmamk_f32 v58, v27, 0xbe8c1d8e, v70
	v_fmac_f32_e32 v54, 0xbe8c1d8e, v26
	v_mul_f32_e32 v59, 0x3f65296c, v66
	v_mul_f32_e32 v61, 0x3f65296c, v68
	;; [unrolled: 1-line block ×3, first 2 shown]
	v_add_f32_e32 v58, v58, v63
	v_add_f32_e32 v45, v54, v45
	v_fma_f32 v54, 0x3ee437d1, v26, -v59
	v_fmamk_f32 v63, v27, 0x3ee437d1, v61
	v_fmac_f32_e32 v59, 0x3ee437d1, v26
	v_add_f32_e32 v48, v69, v48
	v_fma_f32 v69, 0xbe8c1d8e, v27, -v70
	v_add_f32_e32 v49, v54, v49
	v_add_f32_e32 v54, v63, v65
	v_mul_f32_e32 v63, 0x3eb8f4ab, v68
	v_add_f32_e32 v47, v59, v47
	v_fma_f32 v59, 0x3f6eb680, v26, -v66
	v_fma_f32 v61, 0x3ee437d1, v27, -v61
	v_fmac_f32_e32 v66, 0x3f6eb680, v26
	v_fmamk_f32 v26, v27, 0x3f6eb680, v63
	v_sub_f32_e32 v65, v37, v30
	v_fma_f32 v27, 0x3f6eb680, v27, -v63
	v_sub_f32_e32 v63, v62, v25
	v_add_f32_e32 v25, v62, v25
	v_add_f32_e32 v30, v37, v30
	v_mul_f32_e32 v62, 0xbf65296c, v65
	v_add_f32_e32 v61, v61, v64
	v_mul_f32_e32 v37, 0xbf65296c, v63
	v_add_f32_e32 v51, v59, v51
	v_add_f32_e32 v27, v27, v28
	v_fma_f32 v59, 0x3ee437d1, v25, -v62
	v_mul_f32_e32 v64, 0xbf4c4adb, v65
	v_fmamk_f32 v28, v30, 0x3ee437d1, v37
	v_fma_f32 v37, 0x3ee437d1, v30, -v37
	v_fmac_f32_e32 v62, 0x3ee437d1, v25
	v_add_f32_e32 v23, v59, v23
	v_mul_f32_e32 v59, 0xbf4c4adb, v63
	v_add_f32_e32 v28, v28, v31
	v_fma_f32 v31, 0xbf1a4643, v25, -v64
	v_add_f32_e32 v37, v37, v38
	v_mul_f32_e32 v38, 0x3e3c28d5, v65
	v_add_f32_e32 v24, v66, v24
	v_add_f32_e32 v32, v62, v32
	;; [unrolled: 1-line block ×3, first 2 shown]
	v_fmamk_f32 v34, v30, 0xbf1a4643, v59
	v_fmac_f32_e32 v64, 0xbf1a4643, v25
	v_fma_f32 v59, 0xbf1a4643, v30, -v59
	v_fma_f32 v62, 0xbf7ba420, v25, -v38
	v_mul_f32_e32 v66, 0x3e3c28d5, v63
	v_add_f32_e32 v34, v34, v40
	v_add_f32_e32 v35, v64, v35
	;; [unrolled: 1-line block ×4, first 2 shown]
	v_fmamk_f32 v42, v30, 0xbf7ba420, v66
	v_mul_f32_e32 v59, 0x3f763a35, v65
	v_fmac_f32_e32 v38, 0xbf7ba420, v25
	v_fma_f32 v62, 0xbf7ba420, v30, -v66
	v_mul_f32_e32 v64, 0x3f763a35, v63
	v_add_f32_e32 v42, v42, v50
	v_fma_f32 v50, 0xbe8c1d8e, v25, -v59
	v_add_f32_e32 v29, v38, v29
	v_add_f32_e32 v38, v62, v53
	v_fmamk_f32 v53, v30, 0xbe8c1d8e, v64
	v_mul_f32_e32 v62, 0x3f2c7751, v65
	v_add_f32_e32 v44, v50, v44
	v_fmac_f32_e32 v59, 0xbe8c1d8e, v25
	v_fma_f32 v50, 0xbe8c1d8e, v30, -v64
	v_add_f32_e32 v53, v53, v56
	v_fma_f32 v56, 0x3f3d2fb0, v25, -v62
	v_mul_f32_e32 v64, 0x3f2c7751, v63
	v_add_f32_e32 v41, v59, v41
	v_add_f32_e32 v50, v50, v52
	v_mul_f32_e32 v52, 0xbeb8f4ab, v65
	v_add_f32_e32 v46, v56, v46
	v_fmamk_f32 v56, v30, 0x3f3d2fb0, v64
	v_fmac_f32_e32 v62, 0x3f3d2fb0, v25
	v_fma_f32 v59, 0x3f3d2fb0, v30, -v64
	v_mul_f32_e32 v66, 0xbeb8f4ab, v63
	v_fma_f32 v64, 0x3f6eb680, v25, -v52
	v_add_f32_e32 v55, v56, v55
	v_add_f32_e32 v43, v62, v43
	;; [unrolled: 1-line block ×3, first 2 shown]
	v_fmamk_f32 v57, v30, 0x3f6eb680, v66
	v_fmac_f32_e32 v52, 0x3f6eb680, v25
	v_mul_f32_e32 v59, 0xbf7ee86f, v65
	v_mul_f32_e32 v62, 0xbf7ee86f, v63
	v_add_f32_e32 v60, v69, v60
	v_add_f32_e32 v48, v64, v48
	v_fma_f32 v64, 0x3f6eb680, v30, -v66
	v_add_f32_e32 v57, v57, v58
	v_add_f32_e32 v45, v52, v45
	v_fma_f32 v52, 0x3dbcf732, v25, -v59
	v_fmamk_f32 v58, v30, 0x3dbcf732, v62
	v_fmac_f32_e32 v59, 0x3dbcf732, v25
	v_add_f32_e32 v60, v64, v60
	v_mul_f32_e32 v64, 0xbf06c442, v65
	v_add_f32_e32 v49, v52, v49
	v_add_f32_e32 v52, v58, v54
	v_mul_f32_e32 v54, 0xbf06c442, v63
	v_add_f32_e32 v47, v59, v47
	v_fma_f32 v59, 0x3dbcf732, v30, -v62
	v_fma_f32 v58, 0xbf59a7d5, v25, -v64
	v_fmac_f32_e32 v64, 0xbf59a7d5, v25
	v_fmamk_f32 v25, v30, 0xbf59a7d5, v54
	v_sub_f32_e32 v62, v19, v21
	v_fma_f32 v30, 0xbf59a7d5, v30, -v54
	v_add_f32_e32 v54, v59, v61
	v_add_f32_e32 v59, v20, v22
	v_sub_f32_e32 v20, v20, v22
	v_add_f32_e32 v26, v26, v67
	v_mul_f32_e32 v22, 0xbf7ee86f, v62
	v_add_f32_e32 v19, v19, v21
	v_add_f32_e32 v51, v58, v51
	v_mul_f32_e32 v21, 0xbf7ee86f, v20
	v_add_f32_e32 v25, v25, v26
	v_fma_f32 v26, 0x3dbcf732, v59, -v22
	v_add_f32_e32 v27, v30, v27
	v_mul_f32_e32 v30, 0xbe3c28d5, v62
	v_fmamk_f32 v58, v19, 0x3dbcf732, v21
	v_fmac_f32_e32 v22, 0x3dbcf732, v59
	v_add_f32_e32 v23, v26, v23
	v_fma_f32 v21, 0x3dbcf732, v19, -v21
	v_fma_f32 v26, 0xbf7ba420, v59, -v30
	v_add_f32_e32 v28, v58, v28
	v_mul_f32_e32 v58, 0xbe3c28d5, v20
	v_add_f32_e32 v22, v22, v32
	v_add_f32_e32 v21, v21, v37
	;; [unrolled: 1-line block ×3, first 2 shown]
	v_mul_f32_e32 v31, 0x3f763a35, v62
	v_fmamk_f32 v32, v19, 0xbf7ba420, v58
	v_fmac_f32_e32 v30, 0xbf7ba420, v59
	v_fma_f32 v37, 0xbf7ba420, v19, -v58
	v_mul_f32_e32 v58, 0x3f763a35, v20
	v_fma_f32 v61, 0xbe8c1d8e, v59, -v31
	v_add_f32_e32 v32, v32, v34
	v_add_f32_e32 v30, v30, v35
	;; [unrolled: 1-line block ×3, first 2 shown]
	v_fmamk_f32 v35, v19, 0xbe8c1d8e, v58
	v_add_f32_e32 v37, v61, v40
	v_mul_f32_e32 v39, 0x3eb8f4ab, v62
	v_fmac_f32_e32 v31, 0xbe8c1d8e, v59
	v_fma_f32 v40, 0xbe8c1d8e, v19, -v58
	v_add_f32_e32 v35, v35, v42
	v_mul_f32_e32 v42, 0x3eb8f4ab, v20
	v_fma_f32 v58, 0x3f6eb680, v59, -v39
	v_add_f32_e32 v29, v31, v29
	v_add_f32_e32 v31, v40, v38
	v_mul_f32_e32 v38, 0xbf65296c, v62
	v_fmamk_f32 v40, v19, 0x3f6eb680, v42
	v_add_f32_e32 v44, v58, v44
	v_fmac_f32_e32 v39, 0x3f6eb680, v59
	v_fma_f32 v42, 0x3f6eb680, v19, -v42
	v_fma_f32 v58, 0x3ee437d1, v59, -v38
	v_add_f32_e32 v40, v40, v53
	v_mul_f32_e32 v53, 0xbf65296c, v20
	v_add_f32_e32 v39, v39, v41
	v_add_f32_e32 v41, v42, v50
	;; [unrolled: 1-line block ×3, first 2 shown]
	v_mul_f32_e32 v46, 0xbf06c442, v62
	v_fmamk_f32 v50, v19, 0x3ee437d1, v53
	v_fmac_f32_e32 v38, 0x3ee437d1, v59
	v_fma_f32 v53, 0x3ee437d1, v19, -v53
	v_mul_f32_e32 v58, 0xbf06c442, v20
	v_fma_f32 v61, 0xbf59a7d5, v59, -v46
	v_add_f32_e32 v50, v50, v55
	v_add_f32_e32 v38, v38, v43
	;; [unrolled: 1-line block ×3, first 2 shown]
	v_mul_f32_e32 v55, 0x3f4c4adb, v62
	v_fmac_f32_e32 v46, 0xbf59a7d5, v59
	v_fma_f32 v56, 0xbf59a7d5, v19, -v58
	v_fmamk_f32 v53, v19, 0xbf59a7d5, v58
	v_add_f32_e32 v24, v64, v24
	v_fma_f32 v58, 0xbf1a4643, v59, -v55
	v_add_f32_e32 v45, v46, v45
	v_add_f32_e32 v46, v56, v60
	v_mul_f32_e32 v56, 0x3f2c7751, v62
	v_add_f32_e32 v53, v53, v57
	v_mul_f32_e32 v57, 0x3f4c4adb, v20
	v_add_f32_e32 v49, v58, v49
	v_fmac_f32_e32 v55, 0xbf1a4643, v59
	v_fma_f32 v58, 0x3f3d2fb0, v59, -v56
	v_mul_f32_e32 v20, 0x3f2c7751, v20
	v_fmamk_f32 v60, v19, 0xbf1a4643, v57
	v_fma_f32 v57, 0xbf1a4643, v19, -v57
	v_add_f32_e32 v47, v55, v47
	v_add_f32_e32 v51, v58, v51
	v_sub_f32_e32 v55, v15, v17
	v_add_f32_e32 v58, v16, v18
	v_sub_f32_e32 v16, v16, v18
	v_add_f32_e32 v54, v57, v54
	v_fmamk_f32 v57, v19, 0x3f3d2fb0, v20
	v_fmac_f32_e32 v56, 0x3f3d2fb0, v59
	v_mul_f32_e32 v18, 0xbf763a35, v55
	v_fma_f32 v19, 0x3f3d2fb0, v19, -v20
	v_add_f32_e32 v15, v15, v17
	v_mul_f32_e32 v17, 0xbf763a35, v16
	v_add_f32_e32 v20, v57, v25
	v_fma_f32 v25, 0xbe8c1d8e, v58, -v18
	v_add_f32_e32 v24, v56, v24
	v_add_f32_e32 v19, v19, v27
	v_fmamk_f32 v27, v15, 0xbe8c1d8e, v17
	v_mul_f32_e32 v56, 0x3f06c442, v55
	v_add_f32_e32 v23, v25, v23
	v_fmac_f32_e32 v18, 0xbe8c1d8e, v58
	v_fma_f32 v17, 0xbe8c1d8e, v15, -v17
	v_add_f32_e32 v25, v27, v28
	v_fma_f32 v27, 0xbf59a7d5, v58, -v56
	v_mul_f32_e32 v28, 0x3f06c442, v16
	v_add_f32_e32 v18, v18, v22
	v_add_f32_e32 v17, v17, v21
	v_mul_f32_e32 v21, 0x3f2c7751, v55
	v_add_f32_e32 v22, v27, v26
	v_fmamk_f32 v26, v15, 0xbf59a7d5, v28
	v_fma_f32 v27, 0xbf59a7d5, v15, -v28
	v_mul_f32_e32 v57, 0x3f2c7751, v16
	v_fmac_f32_e32 v56, 0xbf59a7d5, v58
	v_fma_f32 v28, 0x3f3d2fb0, v58, -v21
	v_add_f32_e32 v26, v26, v32
	v_add_f32_e32 v27, v27, v34
	v_fmamk_f32 v32, v15, 0x3f3d2fb0, v57
	v_mul_f32_e32 v34, 0xbf65296c, v55
	v_add_f32_e32 v30, v56, v30
	v_add_f32_e32 v28, v28, v37
	v_fmac_f32_e32 v21, 0x3f3d2fb0, v58
	v_fma_f32 v37, 0x3f3d2fb0, v15, -v57
	v_mul_f32_e32 v56, 0xbf65296c, v16
	v_add_f32_e32 v32, v32, v35
	v_fma_f32 v35, 0x3ee437d1, v58, -v34
	v_add_f32_e32 v21, v21, v29
	v_add_f32_e32 v29, v37, v31
	v_fmamk_f32 v31, v15, 0x3ee437d1, v56
	v_mul_f32_e32 v37, 0xbe3c28d5, v55
	v_add_f32_e32 v35, v35, v44
	v_fmac_f32_e32 v34, 0x3ee437d1, v58
	v_fma_f32 v44, 0x3ee437d1, v15, -v56
	v_add_f32_e32 v31, v31, v40
	v_fma_f32 v40, 0xbf7ba420, v58, -v37
	v_mul_f32_e32 v56, 0xbe3c28d5, v16
	v_add_f32_e32 v34, v34, v39
	v_add_f32_e32 v39, v44, v41
	v_mul_f32_e32 v41, 0x3f7ee86f, v55
	v_add_f32_e32 v48, v61, v48
	v_add_f32_e32 v40, v40, v42
	v_fmamk_f32 v42, v15, 0xbf7ba420, v56
	v_fmac_f32_e32 v37, 0xbf7ba420, v58
	v_fma_f32 v44, 0xbf7ba420, v15, -v56
	v_fma_f32 v56, 0x3dbcf732, v58, -v41
	v_mul_f32_e32 v57, 0x3f7ee86f, v16
	v_add_f32_e32 v42, v42, v50
	v_add_f32_e32 v37, v37, v38
	;; [unrolled: 1-line block ×4, first 2 shown]
	v_fmamk_f32 v44, v15, 0x3dbcf732, v57
	v_fmac_f32_e32 v41, 0x3dbcf732, v58
	v_fma_f32 v48, 0x3dbcf732, v15, -v57
	v_mul_f32_e32 v50, 0xbeb8f4ab, v55
	v_mul_f32_e32 v56, 0xbeb8f4ab, v16
	v_add_f32_e32 v52, v60, v52
	v_add_f32_e32 v44, v44, v53
	;; [unrolled: 1-line block ×4, first 2 shown]
	v_fma_f32 v46, 0x3f6eb680, v58, -v50
	v_fmamk_f32 v48, v15, 0x3f6eb680, v56
	v_mul_f32_e32 v53, 0xbf4c4adb, v55
	v_fmac_f32_e32 v50, 0x3f6eb680, v58
	v_fma_f32 v55, 0x3f6eb680, v15, -v56
	v_add_f32_e32 v46, v46, v49
	v_add_f32_e32 v48, v48, v52
	v_fma_f32 v49, 0xbf1a4643, v58, -v53
	v_mul_f32_e32 v16, 0xbf4c4adb, v16
	v_sub_f32_e32 v52, v11, v13
	v_add_f32_e32 v47, v50, v47
	v_add_f32_e32 v50, v55, v54
	v_add_f32_e32 v49, v49, v51
	v_add_f32_e32 v51, v12, v14
	v_mul_f32_e32 v55, 0xbf4c4adb, v52
	v_sub_f32_e32 v12, v12, v14
	v_fma_f32 v14, 0xbf1a4643, v15, -v16
	v_fmac_f32_e32 v53, 0xbf1a4643, v58
	v_fmamk_f32 v54, v15, 0xbf1a4643, v16
	v_add_f32_e32 v11, v11, v13
	v_fma_f32 v15, 0xbf1a4643, v51, -v55
	v_mul_f32_e32 v16, 0xbf4c4adb, v12
	v_add_f32_e32 v14, v14, v19
	v_mul_f32_e32 v19, 0x3f763a35, v52
	v_add_f32_e32 v13, v54, v20
	v_add_f32_e32 v20, v53, v24
	;; [unrolled: 1-line block ×3, first 2 shown]
	v_fmamk_f32 v23, v11, 0xbf1a4643, v16
	v_fma_f32 v16, 0xbf1a4643, v11, -v16
	v_fma_f32 v24, 0xbe8c1d8e, v51, -v19
	v_mul_f32_e32 v53, 0x3f763a35, v12
	v_fmac_f32_e32 v19, 0xbe8c1d8e, v51
	v_add_f32_e32 v23, v23, v25
	v_add_f32_e32 v16, v16, v17
	;; [unrolled: 1-line block ×3, first 2 shown]
	v_fmamk_f32 v22, v11, 0xbe8c1d8e, v53
	v_mul_f32_e32 v24, 0xbeb8f4ab, v52
	v_fma_f32 v25, 0xbe8c1d8e, v11, -v53
	v_mul_f32_e32 v53, 0xbeb8f4ab, v12
	v_add_f32_e32 v19, v19, v30
	v_add_f32_e32 v22, v22, v26
	v_fma_f32 v26, 0x3f6eb680, v51, -v24
	v_add_f32_e32 v25, v25, v27
	v_fmamk_f32 v27, v11, 0x3f6eb680, v53
	v_mul_f32_e32 v30, 0xbf06c442, v52
	v_fmac_f32_e32 v24, 0x3f6eb680, v51
	v_add_f32_e32 v26, v26, v28
	v_fma_f32 v28, 0x3f6eb680, v11, -v53
	v_add_f32_e32 v27, v27, v32
	v_fma_f32 v32, 0xbf59a7d5, v51, -v30
	v_mul_f32_e32 v53, 0xbf06c442, v12
	v_add_f32_e32 v21, v24, v21
	v_add_f32_e32 v24, v28, v29
	v_mul_f32_e32 v28, 0x3f7ee86f, v52
	v_add_f32_e32 v29, v32, v35
	v_fmamk_f32 v32, v11, 0xbf59a7d5, v53
	v_fmac_f32_e32 v30, 0xbf59a7d5, v51
	v_fma_f32 v35, 0xbf59a7d5, v11, -v53
	v_fma_f32 v53, 0x3dbcf732, v51, -v28
	v_mul_f32_e32 v54, 0x3f7ee86f, v12
	v_add_f32_e32 v31, v32, v31
	v_add_f32_e32 v30, v30, v34
	;; [unrolled: 1-line block ×4, first 2 shown]
	v_fmamk_f32 v35, v11, 0x3dbcf732, v54
	v_fmac_f32_e32 v28, 0x3dbcf732, v51
	v_mul_f32_e32 v39, 0xbf2c7751, v52
	v_fma_f32 v40, 0x3dbcf732, v11, -v54
	v_mul_f32_e32 v53, 0xbf2c7751, v12
	v_add_f32_e32 v35, v35, v42
	v_add_f32_e32 v28, v28, v37
	v_fma_f32 v37, 0x3f3d2fb0, v51, -v39
	v_add_f32_e32 v38, v40, v38
	v_fmamk_f32 v40, v11, 0x3f3d2fb0, v53
	v_fmac_f32_e32 v39, 0x3f3d2fb0, v51
	v_mul_f32_e32 v42, 0xbe3c28d5, v52
	v_add_f32_e32 v37, v37, v43
	v_fma_f32 v43, 0x3f3d2fb0, v11, -v53
	v_add_f32_e32 v40, v40, v44
	v_add_f32_e32 v39, v39, v41
	v_fma_f32 v41, 0xbf7ba420, v51, -v42
	v_mul_f32_e32 v44, 0xbe3c28d5, v12
	v_add_f32_e32 v43, v43, v45
	v_fmac_f32_e32 v42, 0xbf7ba420, v51
	v_mul_f32_e32 v12, 0x3f65296c, v12
	v_add_f32_e32 v41, v41, v46
	v_fmamk_f32 v45, v11, 0xbf7ba420, v44
	v_mul_f32_e32 v46, 0x3f65296c, v52
	v_fma_f32 v44, 0xbf7ba420, v11, -v44
	v_add_f32_e32 v42, v42, v47
	v_sub_f32_e32 v47, v7, v9
	v_add_f32_e32 v45, v45, v48
	v_fma_f32 v48, 0x3ee437d1, v51, -v46
	v_add_f32_e32 v44, v44, v50
	v_fmac_f32_e32 v46, 0x3ee437d1, v51
	v_mul_f32_e32 v50, 0xbf06c442, v47
	v_add_f32_e32 v7, v7, v9
	v_add_f32_e32 v48, v48, v49
	;; [unrolled: 1-line block ×3, first 2 shown]
	v_sub_f32_e32 v8, v8, v10
	v_fmamk_f32 v10, v11, 0x3ee437d1, v12
	v_fma_f32 v11, 0x3ee437d1, v11, -v12
	v_fmac_f32_e32 v55, 0xbf1a4643, v51
	v_fma_f32 v9, 0xbf59a7d5, v49, -v50
	v_mul_f32_e32 v12, 0xbf06c442, v8
	v_add_f32_e32 v10, v10, v13
	v_add_f32_e32 v13, v46, v20
	;; [unrolled: 1-line block ×4, first 2 shown]
	v_fmamk_f32 v14, v7, 0xbf59a7d5, v12
	v_mul_f32_e32 v15, 0x3f65296c, v47
	v_fma_f32 v12, 0xbf59a7d5, v7, -v12
	v_mul_f32_e32 v20, 0x3f65296c, v8
	v_mul_f32_e32 v46, 0xbf7ee86f, v47
	v_add_f32_e32 v14, v14, v23
	v_fma_f32 v23, 0x3ee437d1, v49, -v15
	v_add_f32_e32 v12, v12, v16
	v_fmamk_f32 v16, v7, 0x3ee437d1, v20
	v_fmac_f32_e32 v15, 0x3ee437d1, v49
	v_fma_f32 v20, 0x3ee437d1, v7, -v20
	v_add_f32_e32 v18, v55, v18
	v_fmac_f32_e32 v50, 0xbf59a7d5, v49
	v_add_f32_e32 v17, v23, v17
	v_add_f32_e32 v16, v16, v22
	v_fma_f32 v22, 0x3dbcf732, v49, -v46
	v_mul_f32_e32 v23, 0xbf7ee86f, v8
	v_add_f32_e32 v15, v15, v19
	v_add_f32_e32 v19, v20, v25
	v_mul_f32_e32 v20, 0x3f4c4adb, v47
	v_add_f32_e32 v18, v50, v18
	v_add_f32_e32 v22, v22, v26
	v_fmamk_f32 v25, v7, 0x3dbcf732, v23
	v_fma_f32 v23, 0x3dbcf732, v7, -v23
	v_fma_f32 v26, 0xbf1a4643, v49, -v20
	v_mul_f32_e32 v50, 0x3f4c4adb, v8
	v_fmac_f32_e32 v46, 0x3dbcf732, v49
	v_add_f32_e32 v25, v25, v27
	v_add_f32_e32 v23, v23, v24
	;; [unrolled: 1-line block ×3, first 2 shown]
	v_fmamk_f32 v26, v7, 0xbf1a4643, v50
	v_mul_f32_e32 v27, 0xbeb8f4ab, v47
	v_add_f32_e32 v21, v46, v21
	v_fmac_f32_e32 v20, 0xbf1a4643, v49
	v_fma_f32 v29, 0xbf1a4643, v7, -v50
	v_mul_f32_e32 v46, 0xbeb8f4ab, v8
	v_add_f32_e32 v26, v26, v31
	v_fma_f32 v31, 0x3f6eb680, v49, -v27
	v_add_f32_e32 v20, v20, v30
	v_add_f32_e32 v29, v29, v32
	v_fmamk_f32 v30, v7, 0x3f6eb680, v46
	v_mul_f32_e32 v32, 0xbe3c28d5, v47
	v_add_f32_e32 v31, v31, v34
	v_fmac_f32_e32 v27, 0x3f6eb680, v49
	v_fma_f32 v34, 0x3f6eb680, v7, -v46
	v_add_f32_e32 v30, v30, v35
	v_fma_f32 v35, 0xbf7ba420, v49, -v32
	v_mul_f32_e32 v46, 0xbe3c28d5, v8
	v_add_f32_e32 v27, v27, v28
	v_add_f32_e32 v28, v34, v38
	v_mul_f32_e32 v34, 0x3f2c7751, v47
	v_add_f32_e32 v35, v35, v37
	v_fmamk_f32 v37, v7, 0xbf7ba420, v46
	v_fmac_f32_e32 v32, 0xbf7ba420, v49
	v_fma_f32 v38, 0xbf7ba420, v7, -v46
	v_fma_f32 v46, 0x3f3d2fb0, v49, -v34
	v_mul_f32_e32 v50, 0x3f2c7751, v8
	v_add_f32_e32 v37, v37, v40
	v_add_f32_e32 v32, v32, v39
	;; [unrolled: 1-line block ×4, first 2 shown]
	v_fmamk_f32 v40, v7, 0x3f3d2fb0, v50
	v_mul_f32_e32 v41, 0xbf763a35, v47
	v_mul_f32_e32 v8, 0xbf763a35, v8
	v_fmac_f32_e32 v34, 0x3f3d2fb0, v49
	v_fma_f32 v43, 0x3f3d2fb0, v7, -v50
	v_add_f32_e32 v40, v40, v45
	v_fma_f32 v45, 0xbe8c1d8e, v49, -v41
	v_fmamk_f32 v46, v7, 0xbe8c1d8e, v8
	v_add_f32_e32 v34, v34, v42
	v_add_f32_e32 v42, v43, v44
	v_sub_f32_e32 v43, v3, v5
	v_add_f32_e32 v44, v45, v48
	v_add_f32_e32 v45, v46, v10
	;; [unrolled: 1-line block ×3, first 2 shown]
	v_sub_f32_e32 v47, v4, v6
	v_mul_f32_e32 v6, 0xbe3c28d5, v43
	v_add_f32_e32 v48, v3, v5
	v_mul_f32_e32 v10, 0x3eb8f4ab, v43
	v_fmac_f32_e32 v41, 0xbe8c1d8e, v49
	v_mul_f32_e32 v5, 0xbe3c28d5, v47
	v_fma_f32 v3, 0xbf7ba420, v46, -v6
	v_fma_f32 v4, 0xbe8c1d8e, v7, -v8
	v_fmac_f32_e32 v6, 0xbf7ba420, v46
	v_fma_f32 v8, 0x3f6eb680, v46, -v10
	v_fma_f32 v7, 0xbf7ba420, v48, -v5
	v_add_f32_e32 v3, v3, v9
	v_mul_f32_e32 v9, 0x3eb8f4ab, v47
	v_add_f32_e32 v41, v41, v13
	v_add_f32_e32 v49, v4, v11
	v_fmamk_f32 v4, v48, 0xbf7ba420, v5
	v_add_f32_e32 v5, v6, v18
	v_add_f32_e32 v6, v7, v12
	;; [unrolled: 1-line block ×3, first 2 shown]
	v_mul_f32_e32 v13, 0xbf06c442, v43
	v_fmamk_f32 v8, v48, 0x3f6eb680, v9
	v_add_f32_e32 v4, v4, v14
	v_fmac_f32_e32 v10, 0x3f6eb680, v46
	v_fma_f32 v11, 0x3f6eb680, v48, -v9
	v_mul_f32_e32 v12, 0xbf06c442, v47
	v_fma_f32 v14, 0xbf59a7d5, v46, -v13
	v_add_f32_e32 v8, v8, v16
	v_fmac_f32_e32 v13, 0xbf59a7d5, v46
	v_mul_f32_e32 v16, 0x3f2c7751, v47
	v_add_f32_e32 v9, v10, v15
	v_add_f32_e32 v10, v11, v19
	v_fmamk_f32 v15, v48, 0xbf59a7d5, v12
	v_add_f32_e32 v11, v14, v22
	v_mul_f32_e32 v17, 0x3f2c7751, v43
	v_fma_f32 v14, 0xbf59a7d5, v48, -v12
	v_add_f32_e32 v13, v13, v21
	v_mul_f32_e32 v21, 0xbf4c4adb, v43
	v_fmamk_f32 v18, v48, 0x3f3d2fb0, v16
	v_fma_f32 v19, 0x3f3d2fb0, v48, -v16
	v_add_f32_e32 v12, v15, v25
	v_fma_f32 v15, 0x3f3d2fb0, v46, -v17
	v_add_f32_e32 v14, v14, v23
	v_fmac_f32_e32 v17, 0x3f3d2fb0, v46
	v_fma_f32 v22, 0xbf1a4643, v46, -v21
	v_add_f32_e32 v16, v18, v26
	v_mul_f32_e32 v23, 0xbf4c4adb, v47
	v_add_f32_e32 v18, v19, v29
	v_fmac_f32_e32 v21, 0xbf1a4643, v46
	v_mul_f32_e32 v29, 0xbf763a35, v43
	v_add_f32_e32 v17, v17, v20
	v_add_f32_e32 v19, v22, v31
	v_mul_f32_e32 v25, 0x3f65296c, v43
	v_fmamk_f32 v20, v48, 0xbf1a4643, v23
	v_add_f32_e32 v21, v21, v27
	v_fma_f32 v27, 0xbe8c1d8e, v46, -v29
	v_mul_u32_u24_e32 v31, 0x2493, v0
	v_fma_f32 v22, 0xbf1a4643, v48, -v23
	v_fma_f32 v23, 0x3ee437d1, v46, -v25
	v_add_f32_e32 v20, v20, v30
	v_mul_f32_e32 v30, 0xbf763a35, v47
	v_fmac_f32_e32 v25, 0x3ee437d1, v46
	v_add_f32_e32 v27, v27, v39
	v_lshrrev_b32_e32 v39, 16, v31
	v_mul_f32_e32 v26, 0x3f65296c, v47
	v_add_f32_e32 v22, v22, v28
	v_add_f32_e32 v23, v23, v35
	v_fmamk_f32 v28, v48, 0xbe8c1d8e, v30
	v_add_f32_e32 v25, v25, v32
	v_fmac_f32_e32 v29, 0xbe8c1d8e, v46
	v_mul_f32_e32 v35, 0x3f7ee86f, v43
	v_mul_lo_u16 v32, v39, 7
	v_add_f32_e32 v15, v15, v24
	v_fmamk_f32 v24, v48, 0x3ee437d1, v26
	v_add_f32_e32 v28, v28, v40
	v_mul_f32_e32 v31, 0x3f7ee86f, v47
	v_add_f32_e32 v29, v29, v34
	v_fma_f32 v34, 0x3dbcf732, v46, -v35
	v_fmac_f32_e32 v35, 0x3dbcf732, v46
	v_sub_nc_u16 v40, v0, v32
	v_add_f32_e32 v24, v24, v37
	v_fma_f32 v26, 0x3ee437d1, v48, -v26
	v_fmamk_f32 v37, v48, 0x3dbcf732, v31
	v_fma_f32 v0, 0x3dbcf732, v48, -v31
	v_add_f32_e32 v31, v34, v44
	v_add_f32_e32 v34, v35, v41
	v_and_b32_e32 v41, 0xffff, v40
	v_add_f32_e32 v26, v26, v38
	v_add_f32_e32 v32, v37, v45
	v_fma_f32 v30, 0xbe8c1d8e, v48, -v30
	v_add_f32_e32 v35, v0, v49
	v_mad_u64_u32 v[37:38], null, s16, v41, 0
	v_add_f32_e32 v30, v30, v42
	ds_write2_b64 v36, v[1:2], v[3:4] offset1:17
	ds_write2_b64 v36, v[7:8], v[11:12] offset0:34 offset1:51
	ds_write2_b64 v36, v[15:16], v[19:20] offset0:68 offset1:85
	;; [unrolled: 1-line block ×5, first 2 shown]
	v_mul_lo_u16 v2, 0x121, v40
	v_mov_b32_e32 v3, 3
	ds_write2_b64 v36, v[21:22], v[17:18] offset0:204 offset1:221
	v_mov_b32_e32 v0, v38
	ds_write2_b64 v36, v[13:14], v[9:10] offset0:238 offset1:255
	ds_write_b64 v36, v[5:6] offset:2176
	v_lshlrev_b32_e32 v5, 3, v39
	v_lshlrev_b32_sdwa v4, v3, v2 dst_sel:DWORD dst_unused:UNUSED_PAD src0_sel:DWORD src1_sel:WORD_0
	v_mul_lo_u32 v32, s18, v39
	v_mad_u64_u32 v[0:1], null, s17, v41, v[0:1]
	s_waitcnt lgkmcnt(0)
	s_barrier
	buffer_gl0_inv
	v_add3_u32 v22, 0, v5, v4
	v_lshlrev_b64 v[2:3], 3, v[32:33]
	v_mov_b32_e32 v38, v0
	v_add3_u32 v0, 0, v4, v5
	v_add_nc_u32_e32 v32, s2, v32
	ds_read2_b64 v[4:7], v22 offset0:51 offset1:68
	ds_read_b64 v[8:9], v0
	v_lshlrev_b64 v[0:1], 3, v[37:38]
	v_lshlrev_b64 v[10:11], 3, v[32:33]
	v_add_nc_u32_e32 v32, s2, v32
	v_add_co_u32 v20, vcc_lo, s0, v0
	v_add_co_ci_u32_e32 v21, vcc_lo, s1, v1, vcc_lo
	v_lshlrev_b64 v[14:15], 3, v[32:33]
	v_add_co_u32 v12, vcc_lo, v20, v2
	v_add_co_ci_u32_e32 v13, vcc_lo, v21, v3, vcc_lo
	ds_read2_b64 v[0:3], v22 offset0:17 offset1:34
	v_add_nc_u32_e32 v32, s2, v32
	v_add_co_u32 v10, vcc_lo, v20, v10
	v_add_co_ci_u32_e32 v11, vcc_lo, v21, v11, vcc_lo
	v_lshlrev_b64 v[16:17], 3, v[32:33]
	v_add_nc_u32_e32 v32, s2, v32
	v_add_co_u32 v14, vcc_lo, v20, v14
	v_add_co_ci_u32_e32 v15, vcc_lo, v21, v15, vcc_lo
	v_lshlrev_b64 v[18:19], 3, v[32:33]
	v_add_nc_u32_e32 v32, s2, v32
	v_add_co_u32 v16, vcc_lo, v20, v16
	v_add_co_ci_u32_e32 v17, vcc_lo, v21, v17, vcc_lo
	s_waitcnt lgkmcnt(1)
	global_store_dwordx2 v[12:13], v[8:9], off
	s_waitcnt lgkmcnt(0)
	global_store_dwordx2 v[10:11], v[0:1], off
	global_store_dwordx2 v[14:15], v[2:3], off
	;; [unrolled: 1-line block ×3, first 2 shown]
	v_lshlrev_b64 v[4:5], 3, v[32:33]
	v_add_nc_u32_e32 v32, s2, v32
	ds_read2_b64 v[0:3], v22 offset0:85 offset1:102
	ds_read2_b64 v[8:11], v22 offset0:119 offset1:136
	v_add_co_u32 v12, vcc_lo, v20, v18
	v_lshlrev_b64 v[14:15], 3, v[32:33]
	v_add_nc_u32_e32 v32, s2, v32
	v_add_co_ci_u32_e32 v13, vcc_lo, v21, v19, vcc_lo
	v_add_co_u32 v4, vcc_lo, v20, v4
	v_lshlrev_b64 v[16:17], 3, v[32:33]
	v_add_nc_u32_e32 v32, s2, v32
	v_add_co_ci_u32_e32 v5, vcc_lo, v21, v5, vcc_lo
	v_add_co_u32 v14, vcc_lo, v20, v14
	v_add_co_ci_u32_e32 v15, vcc_lo, v21, v15, vcc_lo
	v_lshlrev_b64 v[18:19], 3, v[32:33]
	v_add_nc_u32_e32 v32, s2, v32
	v_add_co_u32 v16, vcc_lo, v20, v16
	v_add_co_ci_u32_e32 v17, vcc_lo, v21, v17, vcc_lo
	global_store_dwordx2 v[12:13], v[6:7], off
	s_waitcnt lgkmcnt(1)
	global_store_dwordx2 v[4:5], v[0:1], off
	global_store_dwordx2 v[14:15], v[2:3], off
	s_waitcnt lgkmcnt(0)
	global_store_dwordx2 v[16:17], v[8:9], off
	v_lshlrev_b64 v[8:9], 3, v[32:33]
	v_add_nc_u32_e32 v32, s2, v32
	ds_read2_b64 v[0:3], v22 offset0:153 offset1:170
	ds_read2_b64 v[4:7], v22 offset0:187 offset1:204
	v_add_co_u32 v12, vcc_lo, v20, v18
	v_lshlrev_b64 v[14:15], 3, v[32:33]
	v_add_nc_u32_e32 v32, s2, v32
	v_add_co_ci_u32_e32 v13, vcc_lo, v21, v19, vcc_lo
	v_add_co_u32 v8, vcc_lo, v20, v8
	v_lshlrev_b64 v[16:17], 3, v[32:33]
	v_add_nc_u32_e32 v32, s2, v32
	v_add_co_ci_u32_e32 v9, vcc_lo, v21, v9, vcc_lo
	v_add_co_u32 v14, vcc_lo, v20, v14
	v_add_co_ci_u32_e32 v15, vcc_lo, v21, v15, vcc_lo
	v_lshlrev_b64 v[18:19], 3, v[32:33]
	v_add_nc_u32_e32 v32, s2, v32
	v_add_co_u32 v16, vcc_lo, v20, v16
	v_add_co_ci_u32_e32 v17, vcc_lo, v21, v17, vcc_lo
	global_store_dwordx2 v[12:13], v[10:11], off
	s_waitcnt lgkmcnt(1)
	global_store_dwordx2 v[8:9], v[0:1], off
	global_store_dwordx2 v[14:15], v[2:3], off
	s_waitcnt lgkmcnt(0)
	global_store_dwordx2 v[16:17], v[4:5], off
	v_lshlrev_b64 v[4:5], 3, v[32:33]
	v_add_nc_u32_e32 v32, s2, v32
	v_add_nc_u32_e32 v8, 0x400, v22
	ds_read2_b64 v[0:3], v22 offset0:221 offset1:238
	v_add_co_u32 v12, vcc_lo, v20, v18
	v_lshlrev_b64 v[14:15], 3, v[32:33]
	v_add_nc_u32_e32 v32, s2, v32
	ds_read2_b64 v[8:11], v8 offset0:127 offset1:144
	v_add_co_ci_u32_e32 v13, vcc_lo, v21, v19, vcc_lo
	v_add_co_u32 v4, vcc_lo, v20, v4
	v_lshlrev_b64 v[16:17], 3, v[32:33]
	v_add_nc_u32_e32 v32, s2, v32
	v_add_co_ci_u32_e32 v5, vcc_lo, v21, v5, vcc_lo
	v_add_co_u32 v14, vcc_lo, v20, v14
	v_lshlrev_b64 v[18:19], 3, v[32:33]
	v_add_co_ci_u32_e32 v15, vcc_lo, v21, v15, vcc_lo
	v_add_co_u32 v16, vcc_lo, v20, v16
	v_add_co_ci_u32_e32 v17, vcc_lo, v21, v17, vcc_lo
	v_add_co_u32 v18, vcc_lo, v20, v18
	v_add_co_ci_u32_e32 v19, vcc_lo, v21, v19, vcc_lo
	global_store_dwordx2 v[12:13], v[6:7], off
	s_waitcnt lgkmcnt(1)
	global_store_dwordx2 v[4:5], v[0:1], off
	global_store_dwordx2 v[14:15], v[2:3], off
	s_waitcnt lgkmcnt(0)
	global_store_dwordx2 v[16:17], v[8:9], off
	global_store_dwordx2 v[18:19], v[10:11], off
	s_endpgm
	.section	.rodata,"a",@progbits
	.p2align	6, 0x0
	.amdhsa_kernel fft_rtc_fwd_len289_factors_17_17_wgs_119_tpt_17_sp_op_CI_CI_sbrc_xy_z_diag
		.amdhsa_group_segment_fixed_size 0
		.amdhsa_private_segment_fixed_size 0
		.amdhsa_kernarg_size 104
		.amdhsa_user_sgpr_count 6
		.amdhsa_user_sgpr_private_segment_buffer 1
		.amdhsa_user_sgpr_dispatch_ptr 0
		.amdhsa_user_sgpr_queue_ptr 0
		.amdhsa_user_sgpr_kernarg_segment_ptr 1
		.amdhsa_user_sgpr_dispatch_id 0
		.amdhsa_user_sgpr_flat_scratch_init 0
		.amdhsa_user_sgpr_private_segment_size 0
		.amdhsa_wavefront_size32 1
		.amdhsa_uses_dynamic_stack 0
		.amdhsa_system_sgpr_private_segment_wavefront_offset 0
		.amdhsa_system_sgpr_workgroup_id_x 1
		.amdhsa_system_sgpr_workgroup_id_y 0
		.amdhsa_system_sgpr_workgroup_id_z 0
		.amdhsa_system_sgpr_workgroup_info 0
		.amdhsa_system_vgpr_workitem_id 0
		.amdhsa_next_free_vgpr 74
		.amdhsa_next_free_sgpr 28
		.amdhsa_reserve_vcc 1
		.amdhsa_reserve_flat_scratch 0
		.amdhsa_float_round_mode_32 0
		.amdhsa_float_round_mode_16_64 0
		.amdhsa_float_denorm_mode_32 3
		.amdhsa_float_denorm_mode_16_64 3
		.amdhsa_dx10_clamp 1
		.amdhsa_ieee_mode 1
		.amdhsa_fp16_overflow 0
		.amdhsa_workgroup_processor_mode 1
		.amdhsa_memory_ordered 1
		.amdhsa_forward_progress 0
		.amdhsa_shared_vgpr_count 0
		.amdhsa_exception_fp_ieee_invalid_op 0
		.amdhsa_exception_fp_denorm_src 0
		.amdhsa_exception_fp_ieee_div_zero 0
		.amdhsa_exception_fp_ieee_overflow 0
		.amdhsa_exception_fp_ieee_underflow 0
		.amdhsa_exception_fp_ieee_inexact 0
		.amdhsa_exception_int_div_zero 0
	.end_amdhsa_kernel
	.text
.Lfunc_end0:
	.size	fft_rtc_fwd_len289_factors_17_17_wgs_119_tpt_17_sp_op_CI_CI_sbrc_xy_z_diag, .Lfunc_end0-fft_rtc_fwd_len289_factors_17_17_wgs_119_tpt_17_sp_op_CI_CI_sbrc_xy_z_diag
                                        ; -- End function
	.section	.AMDGPU.csdata,"",@progbits
; Kernel info:
; codeLenInByte = 14148
; NumSgprs: 30
; NumVgprs: 74
; ScratchSize: 0
; MemoryBound: 0
; FloatMode: 240
; IeeeMode: 1
; LDSByteSize: 0 bytes/workgroup (compile time only)
; SGPRBlocks: 3
; VGPRBlocks: 9
; NumSGPRsForWavesPerEU: 30
; NumVGPRsForWavesPerEU: 74
; Occupancy: 12
; WaveLimiterHint : 1
; COMPUTE_PGM_RSRC2:SCRATCH_EN: 0
; COMPUTE_PGM_RSRC2:USER_SGPR: 6
; COMPUTE_PGM_RSRC2:TRAP_HANDLER: 0
; COMPUTE_PGM_RSRC2:TGID_X_EN: 1
; COMPUTE_PGM_RSRC2:TGID_Y_EN: 0
; COMPUTE_PGM_RSRC2:TGID_Z_EN: 0
; COMPUTE_PGM_RSRC2:TIDIG_COMP_CNT: 0
	.text
	.p2alignl 6, 3214868480
	.fill 48, 4, 3214868480
	.type	__hip_cuid_8ef404b7fdd12077,@object ; @__hip_cuid_8ef404b7fdd12077
	.section	.bss,"aw",@nobits
	.globl	__hip_cuid_8ef404b7fdd12077
__hip_cuid_8ef404b7fdd12077:
	.byte	0                               ; 0x0
	.size	__hip_cuid_8ef404b7fdd12077, 1

	.ident	"AMD clang version 19.0.0git (https://github.com/RadeonOpenCompute/llvm-project roc-6.4.0 25133 c7fe45cf4b819c5991fe208aaa96edf142730f1d)"
	.section	".note.GNU-stack","",@progbits
	.addrsig
	.addrsig_sym __hip_cuid_8ef404b7fdd12077
	.amdgpu_metadata
---
amdhsa.kernels:
  - .args:
      - .actual_access:  read_only
        .address_space:  global
        .offset:         0
        .size:           8
        .value_kind:     global_buffer
      - .offset:         8
        .size:           8
        .value_kind:     by_value
      - .actual_access:  read_only
        .address_space:  global
        .offset:         16
        .size:           8
        .value_kind:     global_buffer
      - .actual_access:  read_only
        .address_space:  global
        .offset:         24
        .size:           8
        .value_kind:     global_buffer
      - .actual_access:  read_only
        .address_space:  global
        .offset:         32
        .size:           8
        .value_kind:     global_buffer
      - .offset:         40
        .size:           8
        .value_kind:     by_value
      - .actual_access:  read_only
        .address_space:  global
        .offset:         48
        .size:           8
        .value_kind:     global_buffer
      - .actual_access:  read_only
        .address_space:  global
        .offset:         56
        .size:           8
        .value_kind:     global_buffer
      - .offset:         64
        .size:           4
        .value_kind:     by_value
      - .actual_access:  read_only
        .address_space:  global
        .offset:         72
        .size:           8
        .value_kind:     global_buffer
      - .actual_access:  read_only
        .address_space:  global
        .offset:         80
        .size:           8
        .value_kind:     global_buffer
      - .actual_access:  read_only
        .address_space:  global
        .offset:         88
        .size:           8
        .value_kind:     global_buffer
      - .actual_access:  write_only
        .address_space:  global
        .offset:         96
        .size:           8
        .value_kind:     global_buffer
    .group_segment_fixed_size: 0
    .kernarg_segment_align: 8
    .kernarg_segment_size: 104
    .language:       OpenCL C
    .language_version:
      - 2
      - 0
    .max_flat_workgroup_size: 119
    .name:           fft_rtc_fwd_len289_factors_17_17_wgs_119_tpt_17_sp_op_CI_CI_sbrc_xy_z_diag
    .private_segment_fixed_size: 0
    .sgpr_count:     30
    .sgpr_spill_count: 0
    .symbol:         fft_rtc_fwd_len289_factors_17_17_wgs_119_tpt_17_sp_op_CI_CI_sbrc_xy_z_diag.kd
    .uniform_work_group_size: 1
    .uses_dynamic_stack: false
    .vgpr_count:     74
    .vgpr_spill_count: 0
    .wavefront_size: 32
    .workgroup_processor_mode: 1
amdhsa.target:   amdgcn-amd-amdhsa--gfx1030
amdhsa.version:
  - 1
  - 2
...

	.end_amdgpu_metadata
